;; amdgpu-corpus repo=ROCm/rocFFT kind=compiled arch=gfx1030 opt=O3
	.text
	.amdgcn_target "amdgcn-amd-amdhsa--gfx1030"
	.amdhsa_code_object_version 6
	.protected	bluestein_single_back_len1134_dim1_half_op_CI_CI ; -- Begin function bluestein_single_back_len1134_dim1_half_op_CI_CI
	.globl	bluestein_single_back_len1134_dim1_half_op_CI_CI
	.p2align	8
	.type	bluestein_single_back_len1134_dim1_half_op_CI_CI,@function
bluestein_single_back_len1134_dim1_half_op_CI_CI: ; @bluestein_single_back_len1134_dim1_half_op_CI_CI
; %bb.0:
	s_load_dwordx4 s[8:11], s[4:5], 0x28
	v_mul_u32_u24_e32 v1, 0x209, v0
	v_mov_b32_e32 v11, 0
	s_mov_b32 s0, exec_lo
	v_lshrrev_b32_e32 v1, 16, v1
	v_add_nc_u32_e32 v10, s6, v1
	s_waitcnt lgkmcnt(0)
	v_cmpx_gt_u64_e64 s[8:9], v[10:11]
	s_cbranch_execz .LBB0_23
; %bb.1:
	s_load_dwordx4 s[0:3], s[4:5], 0x18
	v_mul_lo_u16 v1, 0x7e, v1
	v_sub_nc_u16 v7, v0, v1
	v_and_b32_e32 v55, 0xffff, v7
	v_lshlrev_b32_e32 v49, 2, v55
	s_waitcnt lgkmcnt(0)
	s_load_dwordx4 s[12:15], s[0:1], 0x0
	s_load_dwordx2 s[0:1], s[4:5], 0x0
	s_waitcnt lgkmcnt(0)
	v_mad_u64_u32 v[0:1], null, s14, v10, 0
	v_mad_u64_u32 v[2:3], null, s12, v55, 0
	v_add_co_u32 v8, s6, s0, v49
	v_add_co_ci_u32_e64 v9, null, s1, 0, s6
	s_mul_i32 s7, s13, 0x237
	s_mul_hi_u32 s9, s12, 0x237
	v_mad_u64_u32 v[4:5], null, s15, v10, v[1:2]
	v_add_co_u32 v5, vcc_lo, 0x800, v8
	v_add_co_ci_u32_e32 v6, vcc_lo, 0, v9, vcc_lo
	s_mul_i32 s6, s12, 0x237
	s_mul_i32 s14, s13, 0xfffffe47
	v_mad_u64_u32 v[11:12], null, s13, v55, v[3:4]
	v_mov_b32_e32 v1, v4
	s_mul_hi_u32 s13, s12, 0xfffffe47
	s_add_i32 s7, s9, s7
	s_mul_i32 s8, s12, 0xfffffe47
	s_sub_i32 s9, s13, s12
	v_lshlrev_b64 v[0:1], 2, v[0:1]
	v_mov_b32_e32 v3, v11
	s_lshl_b64 s[12:13], s[6:7], 2
	s_add_i32 s9, s9, s14
	s_load_dwordx2 s[6:7], s[4:5], 0x38
	s_lshl_b64 s[14:15], s[8:9], 2
	v_lshlrev_b64 v[2:3], 2, v[2:3]
	v_add_co_u32 v0, vcc_lo, s10, v0
	v_add_co_ci_u32_e32 v1, vcc_lo, s11, v1, vcc_lo
	v_add_co_u32 v0, vcc_lo, v0, v2
	v_add_co_ci_u32_e32 v1, vcc_lo, v1, v3, vcc_lo
	;; [unrolled: 2-line block ×3, first 2 shown]
	global_load_dword v4, v[0:1], off
	v_add_co_u32 v0, vcc_lo, v2, s14
	v_add_co_ci_u32_e32 v1, vcc_lo, s15, v3, vcc_lo
	s_clause 0x2
	global_load_dword v58, v49, s[0:1]
	global_load_dword v56, v49, s[0:1] offset:504
	global_load_dword v53, v49, s[0:1] offset:1008
	global_load_dword v11, v[2:3], off
	global_load_dword v57, v[5:6], off offset:220
	global_load_dword v12, v[0:1], off
	v_add_co_u32 v0, vcc_lo, v0, s12
	v_add_co_ci_u32_e32 v1, vcc_lo, s13, v1, vcc_lo
	global_load_dword v54, v[5:6], off offset:724
	v_add_co_u32 v2, vcc_lo, v0, s14
	v_add_co_ci_u32_e32 v3, vcc_lo, s15, v1, vcc_lo
	s_clause 0x1
	global_load_dword v13, v[0:1], off
	global_load_dword v14, v[2:3], off
	v_add_co_u32 v0, vcc_lo, v2, s12
	v_add_co_ci_u32_e32 v1, vcc_lo, s13, v3, vcc_lo
	v_add_co_u32 v2, vcc_lo, v0, s14
	v_add_co_ci_u32_e32 v3, vcc_lo, s15, v1, vcc_lo
	global_load_dword v15, v[0:1], off
	v_add_co_u32 v0, vcc_lo, v2, s12
	v_add_co_ci_u32_e32 v1, vcc_lo, s13, v3, vcc_lo
	global_load_dword v52, v[5:6], off offset:1228
	global_load_dword v2, v[2:3], off
	global_load_dword v3, v[0:1], off
	s_clause 0x1
	global_load_dword v51, v49, s[0:1] offset:1512
	global_load_dword v50, v[5:6], off offset:1732
	s_load_dwordx4 s[8:11], s[2:3], 0x0
	v_cmp_gt_u16_e32 vcc_lo, 63, v7
	s_waitcnt vmcnt(15)
	v_lshrrev_b32_e32 v5, 16, v4
	s_waitcnt vmcnt(14)
	v_mul_f16_sdwa v6, v58, v4 dst_sel:DWORD dst_unused:UNUSED_PAD src0_sel:WORD_1 src1_sel:DWORD
	s_waitcnt vmcnt(11)
	v_lshrrev_b32_e32 v17, 16, v11
	s_waitcnt vmcnt(10)
	v_mul_f16_sdwa v18, v57, v11 dst_sel:DWORD dst_unused:UNUSED_PAD src0_sel:WORD_1 src1_sel:DWORD
	v_mul_f16_sdwa v16, v58, v5 dst_sel:DWORD dst_unused:UNUSED_PAD src0_sel:WORD_1 src1_sel:DWORD
	v_fma_f16 v5, v58, v5, -v6
	s_waitcnt vmcnt(9)
	v_lshrrev_b32_e32 v6, 16, v12
	v_fmac_f16_e32 v16, v58, v4
	v_mul_f16_sdwa v4, v57, v17 dst_sel:DWORD dst_unused:UNUSED_PAD src0_sel:WORD_1 src1_sel:DWORD
	v_fma_f16 v17, v57, v17, -v18
	v_mul_f16_sdwa v18, v56, v12 dst_sel:DWORD dst_unused:UNUSED_PAD src0_sel:WORD_1 src1_sel:DWORD
	v_pack_b32_f16 v5, v16, v5
	v_fmac_f16_e32 v4, v57, v11
	v_mul_f16_sdwa v11, v56, v6 dst_sel:DWORD dst_unused:UNUSED_PAD src0_sel:WORD_1 src1_sel:DWORD
	s_waitcnt vmcnt(7)
	v_lshrrev_b32_e32 v16, 16, v13
	v_mul_f16_sdwa v19, v54, v13 dst_sel:DWORD dst_unused:UNUSED_PAD src0_sel:WORD_1 src1_sel:DWORD
	v_fma_f16 v6, v56, v6, -v18
	v_pack_b32_f16 v4, v4, v17
	v_fmac_f16_e32 v11, v56, v12
	v_mul_f16_sdwa v12, v54, v16 dst_sel:DWORD dst_unused:UNUSED_PAD src0_sel:WORD_1 src1_sel:DWORD
	s_waitcnt vmcnt(6)
	v_lshrrev_b32_e32 v17, 16, v14
	v_fma_f16 v16, v54, v16, -v19
	v_mul_f16_sdwa v18, v53, v14 dst_sel:DWORD dst_unused:UNUSED_PAD src0_sel:WORD_1 src1_sel:DWORD
	ds_write_b32 v49, v4 offset:2268
	v_pack_b32_f16 v4, v11, v6
	v_fmac_f16_e32 v12, v54, v13
	v_mul_f16_sdwa v6, v53, v17 dst_sel:DWORD dst_unused:UNUSED_PAD src0_sel:WORD_1 src1_sel:DWORD
	s_waitcnt vmcnt(5)
	v_lshrrev_b32_e32 v11, 16, v15
	v_fma_f16 v13, v53, v17, -v18
	s_waitcnt vmcnt(4)
	v_mul_f16_sdwa v17, v52, v15 dst_sel:DWORD dst_unused:UNUSED_PAD src0_sel:WORD_1 src1_sel:DWORD
	v_pack_b32_f16 v12, v12, v16
	v_fmac_f16_e32 v6, v53, v14
	s_waitcnt vmcnt(3)
	v_lshrrev_b32_e32 v16, 16, v2
	s_waitcnt vmcnt(2)
	v_lshrrev_b32_e32 v18, 16, v3
	v_mul_f16_sdwa v14, v52, v11 dst_sel:DWORD dst_unused:UNUSED_PAD src0_sel:WORD_1 src1_sel:DWORD
	v_fma_f16 v11, v52, v11, -v17
	s_waitcnt vmcnt(1)
	v_mul_f16_sdwa v17, v51, v2 dst_sel:DWORD dst_unused:UNUSED_PAD src0_sel:WORD_1 src1_sel:DWORD
	v_pack_b32_f16 v13, v6, v13
	v_mul_f16_sdwa v6, v51, v16 dst_sel:DWORD dst_unused:UNUSED_PAD src0_sel:WORD_1 src1_sel:DWORD
	s_waitcnt vmcnt(0)
	v_mul_f16_sdwa v19, v50, v18 dst_sel:DWORD dst_unused:UNUSED_PAD src0_sel:WORD_1 src1_sel:DWORD
	v_mul_f16_sdwa v20, v50, v3 dst_sel:DWORD dst_unused:UNUSED_PAD src0_sel:WORD_1 src1_sel:DWORD
	v_fmac_f16_e32 v14, v52, v15
	v_fma_f16 v15, v51, v16, -v17
	v_fmac_f16_e32 v6, v51, v2
	v_fmac_f16_e32 v19, v50, v3
	v_fma_f16 v2, v50, v18, -v20
	v_pack_b32_f16 v3, v14, v11
	v_add_nc_u32_e32 v11, 0xa00, v49
	v_pack_b32_f16 v14, v6, v15
	v_add_nc_u32_e32 v6, 0x200, v49
	v_pack_b32_f16 v2, v19, v2
	ds_write2_b32 v49, v5, v4 offset1:126
	ds_write2_b32 v11, v12, v3 offset0:53 offset1:179
	ds_write2_b32 v6, v13, v14 offset0:124 offset1:250
	ds_write_b32 v49, v2 offset:3780
	s_and_saveexec_b32 s1, vcc_lo
	s_cbranch_execz .LBB0_3
; %bb.2:
	v_add_co_u32 v0, s0, v0, s14
	v_add_co_ci_u32_e64 v1, s0, s15, v1, s0
	v_add_co_u32 v2, s0, v0, s12
	v_add_co_ci_u32_e64 v3, s0, s13, v1, s0
	global_load_dword v4, v[0:1], off
	global_load_dword v2, v[2:3], off
	v_add_co_u32 v0, s0, 0x1000, v8
	v_add_co_ci_u32_e64 v1, s0, 0, v9, s0
	s_clause 0x1
	global_load_dword v3, v[8:9], off offset:2016
	global_load_dword v0, v[0:1], off offset:188
	s_waitcnt vmcnt(3)
	v_lshrrev_b32_e32 v1, 16, v4
	s_waitcnt vmcnt(2)
	v_lshrrev_b32_e32 v5, 16, v2
	s_waitcnt vmcnt(1)
	v_mul_f16_sdwa v7, v3, v4 dst_sel:DWORD dst_unused:UNUSED_PAD src0_sel:WORD_1 src1_sel:DWORD
	v_mul_f16_sdwa v11, v3, v1 dst_sel:DWORD dst_unused:UNUSED_PAD src0_sel:WORD_1 src1_sel:DWORD
	s_waitcnt vmcnt(0)
	v_mul_f16_sdwa v12, v0, v5 dst_sel:DWORD dst_unused:UNUSED_PAD src0_sel:WORD_1 src1_sel:DWORD
	v_mul_f16_sdwa v13, v0, v2 dst_sel:DWORD dst_unused:UNUSED_PAD src0_sel:WORD_1 src1_sel:DWORD
	v_fma_f16 v1, v3, v1, -v7
	v_fmac_f16_e32 v11, v3, v4
	v_fmac_f16_e32 v12, v0, v2
	v_fma_f16 v0, v0, v5, -v13
	v_pack_b32_f16 v1, v11, v1
	v_pack_b32_f16 v0, v12, v0
	ds_write_b32 v49, v1 offset:2016
	ds_write_b32 v49, v0 offset:4284
.LBB0_3:
	s_or_b32 exec_lo, exec_lo, s1
	v_add_nc_u32_e32 v0, 0x800, v49
	v_add_nc_u32_e32 v7, 0xc00, v49
	s_waitcnt lgkmcnt(0)
	s_barrier
	buffer_gl0_inv
	ds_read2_b32 v[2:3], v49 offset1:126
	ds_read2_b32 v[4:5], v0 offset0:55 offset1:181
	ds_read2_b32 v[0:1], v6 offset0:124 offset1:250
	;; [unrolled: 1-line block ×3, first 2 shown]
	s_load_dwordx2 s[2:3], s[4:5], 0x8
                                        ; implicit-def: $vgpr11
                                        ; implicit-def: $vgpr12
	s_and_saveexec_b32 s0, vcc_lo
	s_cbranch_execz .LBB0_5
; %bb.4:
	ds_read_b32 v11, v49 offset:2016
	ds_read_b32 v12, v49 offset:4284
.LBB0_5:
	s_or_b32 exec_lo, exec_lo, s0
	v_add_co_u32 v27, s0, 0x7e, v55
	v_add_co_ci_u32_e64 v13, null, 0, 0, s0
	v_add_co_u32 v28, s0, 0xfc, v55
	v_add_co_u32 v19, null, 0x1f8, v55
	s_waitcnt lgkmcnt(0)
	v_pk_add_f16 v14, v2, v4 neg_lo:[0,1] neg_hi:[0,1]
	v_pk_add_f16 v16, v3, v5 neg_lo:[0,1] neg_hi:[0,1]
	v_lshlrev_b16 v5, 1, v55
	v_mov_b32_e32 v4, 2
	v_pk_add_f16 v6, v0, v6 neg_lo:[0,1] neg_hi:[0,1]
	v_pk_add_f16 v18, v1, v7 neg_lo:[0,1] neg_hi:[0,1]
	v_add_co_ci_u32_e64 v13, null, 0, 0, s0
	v_lshlrev_b32_e32 v63, 3, v55
	v_pk_add_f16 v12, v11, v12 neg_lo:[0,1] neg_hi:[0,1]
	v_lshlrev_b32_sdwa v59, v4, v5 dst_sel:DWORD dst_unused:UNUSED_PAD src0_sel:DWORD src1_sel:WORD_0
	v_pk_fma_f16 v13, v2, 2.0, v14 op_sel_hi:[1,0,1] neg_lo:[0,0,1] neg_hi:[0,0,1]
	v_lshlrev_b32_e32 v61, 3, v27
	v_lshlrev_b32_e32 v62, 3, v28
	;; [unrolled: 1-line block ×3, first 2 shown]
	v_pk_fma_f16 v15, v3, 2.0, v16 op_sel_hi:[1,0,1] neg_lo:[0,0,1] neg_hi:[0,0,1]
	v_pk_fma_f16 v5, v0, 2.0, v6 op_sel_hi:[1,0,1] neg_lo:[0,0,1] neg_hi:[0,0,1]
	;; [unrolled: 1-line block ×3, first 2 shown]
	s_barrier
	buffer_gl0_inv
	ds_write_b64 v59, v[13:14]
	ds_write_b64 v61, v[15:16]
	;; [unrolled: 1-line block ×3, first 2 shown]
	ds_write_b64 v63, v[17:18] offset:3024
	s_and_saveexec_b32 s0, vcc_lo
	s_cbranch_execz .LBB0_7
; %bb.6:
	v_pk_fma_f16 v11, v11, 2.0, v12 op_sel_hi:[1,0,1] neg_lo:[0,0,1] neg_hi:[0,0,1]
	ds_write_b64 v60, v[11:12]
.LBB0_7:
	s_or_b32 exec_lo, exec_lo, s0
	v_and_b32_e32 v7, 1, v55
	s_waitcnt lgkmcnt(0)
	s_barrier
	buffer_gl0_inv
	v_add_nc_u32_e32 v1, 0x200, v49
	v_lshlrev_b32_e32 v0, 3, v7
	v_add_nc_u32_e32 v48, 0xa00, v49
	ds_read2_b32 v[5:6], v49 offset1:126
	ds_read_b32 v11, v49 offset:4032
	v_lshrrev_b32_e32 v21, 1, v55
	global_load_dwordx2 v[13:14], v0, s[2:3]
	v_add_nc_u32_e32 v0, 0x600, v49
	v_lshrrev_b32_e32 v22, 1, v27
	ds_read2_b32 v[15:16], v1 offset0:124 offset1:250
	ds_read2_b32 v[17:18], v48 offset0:116 offset1:242
	;; [unrolled: 1-line block ×3, first 2 shown]
	v_lshrrev_b32_e32 v23, 1, v28
	v_and_b32_e32 v2, 0xff, v55
	v_and_b32_e32 v3, 0xff, v27
	v_mov_b32_e32 v24, 0xaaab
	v_mul_u32_u24_e32 v21, 6, v21
	v_mul_u32_u24_e32 v22, 6, v22
	;; [unrolled: 1-line block ×3, first 2 shown]
	v_mul_lo_u16 v25, 0xab, v2
	v_mul_lo_u16 v26, 0xab, v3
	v_mul_u32_u24_sdwa v24, v28, v24 dst_sel:DWORD dst_unused:UNUSED_PAD src0_sel:WORD_0 src1_sel:DWORD
	v_or_b32_e32 v21, v21, v7
	v_or_b32_e32 v22, v22, v7
	;; [unrolled: 1-line block ×3, first 2 shown]
	s_waitcnt lgkmcnt(3)
	v_lshrrev_b32_e32 v30, 16, v11
	v_lshrrev_b16 v23, 10, v25
	v_lshrrev_b16 v25, 10, v26
	v_lshrrev_b32_e32 v24, 18, v24
	s_waitcnt lgkmcnt(2)
	v_lshrrev_b32_e32 v31, 16, v16
	s_waitcnt lgkmcnt(1)
	;; [unrolled: 2-line block ×3, first 2 shown]
	v_lshrrev_b32_e32 v33, 16, v19
	v_lshrrev_b32_e32 v34, 16, v18
	;; [unrolled: 1-line block ×4, first 2 shown]
	v_lshlrev_b32_e32 v66, 2, v21
	v_lshlrev_b32_e32 v65, 2, v22
	v_mul_lo_u16 v21, v25, 6
	v_mul_lo_u16 v22, v24, 6
	v_lshrrev_b32_e32 v26, 16, v5
	v_lshrrev_b32_e32 v29, 16, v6
	v_lshlrev_b32_e32 v64, 2, v7
	v_mul_lo_u16 v7, v23, 6
	v_sub_nc_u16 v21, v27, v21
	v_sub_nc_u16 v22, v28, v22
	s_waitcnt vmcnt(0)
	s_barrier
	v_sub_nc_u16 v7, v55, v7
	v_and_b32_e32 v35, 0xff, v21
	v_lshlrev_b16 v21, 3, v22
	buffer_gl0_inv
	v_and_b32_e32 v7, 0xff, v7
	v_lshlrev_b32_e32 v39, 3, v35
	v_and_b32_e32 v21, 0xffff, v21
	v_lshlrev_b32_e32 v38, 3, v7
	v_mul_f16_sdwa v40, v31, v13 dst_sel:DWORD dst_unused:UNUSED_PAD src0_sel:DWORD src1_sel:WORD_1
	v_mul_f16_sdwa v41, v16, v13 dst_sel:DWORD dst_unused:UNUSED_PAD src0_sel:DWORD src1_sel:WORD_1
	;; [unrolled: 1-line block ×12, first 2 shown]
	v_fma_f16 v16, v16, v13, -v40
	v_fmac_f16_e32 v41, v31, v13
	v_fma_f16 v17, v17, v14, -v42
	v_fmac_f16_e32 v43, v32, v14
	;; [unrolled: 2-line block ×6, first 2 shown]
	v_add_f16_e32 v31, v16, v17
	v_add_f16_e32 v34, v41, v43
	;; [unrolled: 1-line block ×5, first 2 shown]
	v_sub_f16_e32 v67, v68, v70
	v_add_f16_e32 v69, v36, v68
	v_add_f16_e32 v68, v68, v70
	;; [unrolled: 1-line block ×3, first 2 shown]
	v_sub_f16_e32 v32, v41, v43
	v_add_f16_e32 v33, v26, v41
	v_sub_f16_e32 v16, v16, v17
	v_fma_f16 v5, -0.5, v31, v5
	v_fmac_f16_e32 v26, -0.5, v34
	v_add_f16_e32 v37, v6, v19
	v_sub_f16_e32 v41, v45, v47
	v_add_f16_e32 v42, v29, v45
	v_sub_f16_e32 v19, v19, v18
	v_fmac_f16_e32 v6, -0.5, v40
	v_fmac_f16_e32 v29, -0.5, v44
	v_add_f16_e32 v45, v15, v20
	v_sub_f16_e32 v20, v20, v11
	v_fmac_f16_e32 v15, -0.5, v46
	v_fmac_f16_e32 v36, -0.5, v68
	v_add_f16_e32 v17, v30, v17
	v_add_f16_e32 v30, v33, v43
	v_fmamk_f16 v34, v32, 0x3aee, v5
	v_fmac_f16_e32 v5, 0xbaee, v32
	v_fmamk_f16 v32, v16, 0xbaee, v26
	v_fmac_f16_e32 v26, 0x3aee, v16
	v_add_f16_e32 v18, v37, v18
	v_add_f16_e32 v31, v42, v47
	v_fmamk_f16 v16, v41, 0x3aee, v6
	v_fmamk_f16 v37, v19, 0xbaee, v29
	v_fmac_f16_e32 v6, 0xbaee, v41
	v_fmac_f16_e32 v29, 0x3aee, v19
	v_add_f16_e32 v11, v45, v11
	v_add_f16_e32 v33, v69, v70
	v_fmamk_f16 v19, v67, 0x3aee, v15
	v_fmamk_f16 v40, v20, 0xbaee, v36
	v_fmac_f16_e32 v15, 0xbaee, v67
	v_fmac_f16_e32 v36, 0x3aee, v20
	v_pack_b32_f16 v17, v17, v30
	v_pack_b32_f16 v20, v34, v32
	v_pack_b32_f16 v5, v5, v26
	v_pack_b32_f16 v18, v18, v31
	v_pack_b32_f16 v16, v16, v37
	v_pack_b32_f16 v6, v6, v29
	v_pack_b32_f16 v11, v11, v33
	v_pack_b32_f16 v19, v19, v40
	v_pack_b32_f16 v15, v15, v36
	ds_write2_b32 v66, v17, v20 offset1:2
	ds_write_b32 v66, v5 offset:16
	ds_write2_b32 v65, v18, v16 offset1:2
	ds_write_b32 v65, v6 offset:16
	;; [unrolled: 2-line block ×3, first 2 shown]
	v_add_co_u32 v5, s0, s2, v21
	v_add_co_ci_u32_e64 v6, null, s3, 0, s0
	s_waitcnt lgkmcnt(0)
	s_barrier
	buffer_gl0_inv
	s_clause 0x2
	global_load_dwordx2 v[19:20], v38, s[2:3] offset:16
	global_load_dwordx2 v[17:18], v39, s[2:3] offset:16
	global_load_dwordx2 v[15:16], v[5:6], off offset:16
	v_mul_lo_u16 v6, v2, 57
	v_mov_b32_e32 v5, 0xe38f
	v_mul_lo_u16 v11, v3, 57
	v_mad_u16 v36, v24, 18, v22
	v_mul_lo_u16 v2, v2, 19
	v_lshrrev_b16 v31, 10, v6
	v_mul_u32_u24_sdwa v5, v28, v5 dst_sel:DWORD dst_unused:UNUSED_PAD src0_sel:WORD_0 src1_sel:DWORD
	v_lshrrev_b16 v11, 10, v11
	v_lshlrev_b32_sdwa v69, v4, v36 dst_sel:DWORD dst_unused:UNUSED_PAD src0_sel:DWORD src1_sel:WORD_0
	v_mul_lo_u16 v3, v3, 19
	v_mul_lo_u16 v6, v31, 18
	v_lshrrev_b32_e32 v32, 20, v5
	v_mov_b32_e32 v5, 18
	v_mul_lo_u16 v21, v11, 18
	v_sub_nc_u16 v6, v55, v6
	v_mul_lo_u16 v26, v32, 18
	v_mul_u32_u24_sdwa v29, v23, v5 dst_sel:DWORD dst_unused:UNUSED_PAD src0_sel:WORD_0 src1_sel:DWORD
	v_mul_u32_u24_sdwa v30, v25, v5 dst_sel:DWORD dst_unused:UNUSED_PAD src0_sel:WORD_0 src1_sel:DWORD
	v_sub_nc_u16 v33, v27, v21
	v_and_b32_e32 v37, 0xff, v6
	ds_read2_b32 v[5:6], v49 offset1:126
	ds_read2_b32 v[21:22], v1 offset0:124 offset1:250
	ds_read2_b32 v[23:24], v48 offset0:116 offset1:242
	v_sub_nc_u16 v34, v28, v26
	ds_read2_b32 v[25:26], v0 offset0:120 offset1:246
	v_add_lshl_u32 v68, v29, v7, 2
	ds_read_b32 v7, v49 offset:4032
	v_and_b32_e32 v33, 0xff, v33
	v_lshlrev_b16 v38, 3, v34
	v_add_lshl_u32 v67, v30, v35, 2
	v_lshlrev_b32_e32 v35, 3, v37
	s_waitcnt vmcnt(0) lgkmcnt(0)
	v_lshlrev_b32_e32 v36, 3, v33
	v_and_b32_e32 v29, 0xffff, v38
	s_barrier
	buffer_gl0_inv
	v_mad_u16 v32, v32, 54, v34
	v_add_co_u32 v29, s0, s2, v29
	v_lshrrev_b32_e32 v38, 16, v5
	v_lshrrev_b32_e32 v39, 16, v22
	;; [unrolled: 1-line block ×9, first 2 shown]
	v_add_co_ci_u32_e64 v30, null, s3, 0, s0
	v_mul_f16_sdwa v47, v39, v19 dst_sel:DWORD dst_unused:UNUSED_PAD src0_sel:DWORD src1_sel:WORD_1
	v_mul_f16_sdwa v70, v22, v19 dst_sel:DWORD dst_unused:UNUSED_PAD src0_sel:DWORD src1_sel:WORD_1
	;; [unrolled: 1-line block ×12, first 2 shown]
	v_fma_f16 v23, v23, v20, -v71
	v_fmac_f16_e32 v70, v39, v19
	v_fmac_f16_e32 v72, v40, v20
	v_fma_f16 v22, v22, v19, -v47
	v_fma_f16 v24, v24, v18, -v73
	;; [unrolled: 1-line block ×3, first 2 shown]
	v_fmac_f16_e32 v75, v42, v17
	v_fmac_f16_e32 v76, v43, v18
	v_fma_f16 v26, v26, v15, -v77
	v_fmac_f16_e32 v78, v45, v15
	v_fma_f16 v7, v7, v16, -v79
	v_fmac_f16_e32 v80, v46, v16
	v_add_f16_e32 v40, v22, v23
	v_add_f16_e32 v45, v70, v72
	;; [unrolled: 1-line block ×4, first 2 shown]
	v_sub_f16_e32 v42, v70, v72
	v_add_f16_e32 v43, v38, v70
	v_sub_f16_e32 v70, v75, v76
	v_add_f16_e32 v71, v41, v75
	v_add_f16_e32 v75, v26, v7
	v_sub_f16_e32 v77, v78, v80
	v_add_f16_e32 v79, v44, v78
	v_add_f16_e32 v78, v78, v80
	;; [unrolled: 1-line block ×3, first 2 shown]
	v_sub_f16_e32 v22, v22, v23
	v_fmac_f16_e32 v38, -0.5, v45
	v_fma_f16 v5, -0.5, v40, v5
	v_add_f16_e32 v46, v6, v25
	v_sub_f16_e32 v25, v25, v24
	v_fmac_f16_e32 v6, -0.5, v47
	v_fmac_f16_e32 v41, -0.5, v73
	v_add_f16_e32 v74, v21, v26
	v_sub_f16_e32 v26, v26, v7
	v_fmac_f16_e32 v21, -0.5, v75
	v_fmac_f16_e32 v44, -0.5, v78
	v_add_f16_e32 v23, v39, v23
	v_add_f16_e32 v39, v43, v72
	v_fmamk_f16 v45, v42, 0x3aee, v5
	v_fmac_f16_e32 v5, 0xbaee, v42
	v_fmamk_f16 v42, v22, 0xbaee, v38
	v_fmac_f16_e32 v38, 0x3aee, v22
	v_add_f16_e32 v24, v46, v24
	v_add_f16_e32 v40, v71, v76
	v_fmamk_f16 v22, v70, 0x3aee, v6
	v_fmamk_f16 v46, v25, 0xbaee, v41
	v_fmac_f16_e32 v6, 0xbaee, v70
	v_fmac_f16_e32 v41, 0x3aee, v25
	v_add_f16_e32 v7, v74, v7
	v_add_f16_e32 v43, v79, v80
	v_fmamk_f16 v25, v77, 0x3aee, v21
	v_fmac_f16_e32 v21, 0xbaee, v77
	v_fmamk_f16 v47, v26, 0xbaee, v44
	v_fmac_f16_e32 v44, 0x3aee, v26
	v_pack_b32_f16 v23, v23, v39
	v_pack_b32_f16 v26, v45, v42
	;; [unrolled: 1-line block ×9, first 2 shown]
	ds_write2_b32 v68, v23, v26 offset1:6
	ds_write_b32 v68, v5 offset:48
	ds_write2_b32 v67, v24, v22 offset1:6
	ds_write_b32 v67, v6 offset:48
	;; [unrolled: 2-line block ×3, first 2 shown]
	s_waitcnt lgkmcnt(0)
	s_barrier
	buffer_gl0_inv
	s_clause 0x2
	global_load_dwordx2 v[25:26], v35, s[2:3] offset:64
	global_load_dwordx2 v[23:24], v36, s[2:3] offset:64
	global_load_dwordx2 v[21:22], v[29:30], off offset:64
	v_lshrrev_b16 v5, 1, v28
	v_mov_b32_e32 v6, 0x97b5
	v_lshrrev_b16 v7, 10, v2
	v_lshrrev_b16 v39, 10, v3
	v_mov_b32_e32 v2, 54
	v_lshlrev_b32_sdwa v72, v4, v32 dst_sel:DWORD dst_unused:UNUSED_PAD src0_sel:DWORD src1_sel:WORD_0
	v_mul_u32_u24_sdwa v5, v5, v6 dst_sel:DWORD dst_unused:UNUSED_PAD src0_sel:WORD_0 src1_sel:DWORD
	v_mul_lo_u16 v3, v7, 54
	v_mul_u32_u24_sdwa v35, v31, v2 dst_sel:DWORD dst_unused:UNUSED_PAD src0_sel:WORD_0 src1_sel:DWORD
	v_mul_u32_u24_sdwa v11, v11, v2 dst_sel:DWORD dst_unused:UNUSED_PAD src0_sel:WORD_0 src1_sel:DWORD
	v_lshrrev_b32_e32 v40, 20, v5
	v_mul_lo_u16 v5, v39, 54
	v_sub_nc_u16 v3, v55, v3
	v_add_lshl_u32 v70, v35, v37, 2
	v_add_lshl_u32 v71, v11, v33, 2
	v_mul_lo_u16 v6, v40, 54
	v_sub_nc_u16 v36, v27, v5
	v_and_b32_e32 v42, 0xff, v3
	v_sub_nc_u16 v41, v28, v6
	ds_read2_b32 v[2:3], v49 offset1:126
	ds_read2_b32 v[5:6], v1 offset0:124 offset1:250
	ds_read2_b32 v[28:29], v48 offset0:116 offset1:242
	;; [unrolled: 1-line block ×3, first 2 shown]
	ds_read_b32 v37, v49 offset:4032
	v_and_b32_e32 v43, 0xff, v36
	v_lshlrev_b16 v34, 3, v41
	v_lshlrev_b32_e32 v32, 3, v42
	s_waitcnt vmcnt(0) lgkmcnt(0)
	s_barrier
	v_lshlrev_b32_e32 v38, 3, v43
	v_and_b32_e32 v11, 0xffff, v34
	buffer_gl0_inv
	v_add_co_u32 v35, s0, s2, v11
	v_add_co_ci_u32_e64 v36, null, s3, 0, s0
	v_lshrrev_b32_e32 v11, 16, v2
	v_lshrrev_b32_e32 v33, 16, v6
	v_lshrrev_b32_e32 v34, 16, v28
	v_lshrrev_b32_e32 v45, 16, v30
	v_lshrrev_b32_e32 v46, 16, v29
	v_lshrrev_b32_e32 v47, 16, v31
	v_lshrrev_b32_e32 v73, 16, v37
	v_lshrrev_b32_e32 v44, 16, v3
	v_lshrrev_b32_e32 v74, 16, v5
	v_cmp_gt_u16_e64 s0, 36, v55
	v_mul_f16_sdwa v75, v6, v25 dst_sel:DWORD dst_unused:UNUSED_PAD src0_sel:DWORD src1_sel:WORD_1
	v_mul_f16_sdwa v76, v34, v26 dst_sel:DWORD dst_unused:UNUSED_PAD src0_sel:DWORD src1_sel:WORD_1
	;; [unrolled: 1-line block ×12, first 2 shown]
	v_fma_f16 v28, v28, v26, -v76
	v_fmac_f16_e32 v75, v33, v25
	v_fmac_f16_e32 v78, v34, v26
	v_fma_f16 v6, v6, v25, -v84
	v_fma_f16 v29, v29, v24, -v77
	;; [unrolled: 1-line block ×3, first 2 shown]
	v_fmac_f16_e32 v82, v45, v23
	v_fmac_f16_e32 v81, v46, v24
	v_fma_f16 v31, v31, v21, -v80
	v_fmac_f16_e32 v83, v47, v21
	v_fma_f16 v33, v37, v22, -v85
	v_fmac_f16_e32 v86, v73, v22
	v_add_f16_e32 v37, v6, v28
	v_add_f16_e32 v47, v75, v78
	v_sub_f16_e32 v45, v75, v78
	v_add_f16_e32 v46, v11, v75
	v_add_f16_e32 v75, v30, v29
	;; [unrolled: 1-line block ×4, first 2 shown]
	v_sub_f16_e32 v77, v82, v81
	v_add_f16_e32 v82, v31, v33
	v_add_f16_e32 v84, v74, v83
	v_sub_f16_e32 v85, v83, v86
	v_add_f16_e32 v83, v83, v86
	v_add_f16_e32 v34, v2, v6
	v_sub_f16_e32 v6, v6, v28
	v_add_f16_e32 v80, v5, v31
	v_fmac_f16_e32 v11, -0.5, v47
	v_fma_f16 v2, -0.5, v37, v2
	v_add_f16_e32 v73, v3, v30
	v_sub_f16_e32 v30, v30, v29
	v_fmac_f16_e32 v3, -0.5, v75
	v_fmac_f16_e32 v44, -0.5, v79
	v_sub_f16_e32 v31, v31, v33
	v_fmac_f16_e32 v5, -0.5, v82
	v_fmac_f16_e32 v74, -0.5, v83
	v_add_f16_e32 v28, v34, v28
	v_add_f16_e32 v34, v46, v78
	;; [unrolled: 1-line block ×4, first 2 shown]
	v_fmamk_f16 v47, v45, 0x3aee, v2
	v_fmac_f16_e32 v2, 0xbaee, v45
	v_fmamk_f16 v45, v6, 0xbaee, v11
	v_fmac_f16_e32 v11, 0x3aee, v6
	v_add_f16_e32 v29, v73, v29
	v_add_f16_e32 v46, v76, v81
	v_fmamk_f16 v6, v77, 0x3aee, v3
	v_fmamk_f16 v73, v30, 0xbaee, v44
	v_fmac_f16_e32 v3, 0xbaee, v77
	v_fmac_f16_e32 v44, 0x3aee, v30
	v_fmamk_f16 v30, v85, 0x3aee, v5
	v_fmamk_f16 v75, v31, 0xbaee, v74
	v_fmac_f16_e32 v5, 0xbaee, v85
	v_fmac_f16_e32 v74, 0x3aee, v31
	v_pack_b32_f16 v28, v28, v34
	v_pack_b32_f16 v31, v33, v37
	;; [unrolled: 1-line block ×9, first 2 shown]
	ds_write2_b32 v70, v28, v33 offset1:18
	ds_write_b32 v70, v2 offset:144
	ds_write2_b32 v71, v29, v6 offset1:18
	ds_write_b32 v71, v3 offset:144
	;; [unrolled: 2-line block ×3, first 2 shown]
	s_waitcnt lgkmcnt(0)
	s_barrier
	buffer_gl0_inv
	s_clause 0x2
	global_load_dwordx2 v[33:34], v32, s[2:3] offset:208
	global_load_dwordx2 v[31:32], v38, s[2:3] offset:208
	global_load_dwordx2 v[29:30], v[35:36], off offset:208
	ds_read2_b32 v[2:3], v49 offset1:126
	ds_read2_b32 v[37:38], v1 offset0:124 offset1:250
	ds_read2_b32 v[5:6], v48 offset0:116 offset1:242
	;; [unrolled: 1-line block ×3, first 2 shown]
	ds_read_b32 v11, v49 offset:4032
	v_mov_b32_e32 v1, 0xa2
	v_mad_u16 v28, 0xa2, v40, v41
	v_add_nc_u32_e32 v81, 0x400, v49
	s_waitcnt vmcnt(0) lgkmcnt(0)
	s_barrier
	v_mul_u32_u24_sdwa v7, v7, v1 dst_sel:DWORD dst_unused:UNUSED_PAD src0_sel:WORD_0 src1_sel:DWORD
	v_mul_u32_u24_sdwa v1, v39, v1 dst_sel:DWORD dst_unused:UNUSED_PAD src0_sel:WORD_0 src1_sel:DWORD
	v_lshlrev_b32_sdwa v73, v4, v28 dst_sel:DWORD dst_unused:UNUSED_PAD src0_sel:DWORD src1_sel:WORD_0
	buffer_gl0_inv
	v_add_lshl_u32 v75, v7, v42, 2
	v_add_lshl_u32 v74, v1, v43, 2
	v_lshrrev_b32_e32 v1, 16, v2
	v_lshrrev_b32_e32 v4, 16, v38
	;; [unrolled: 1-line block ×9, first 2 shown]
	v_mul_f16_sdwa v43, v38, v33 dst_sel:DWORD dst_unused:UNUSED_PAD src0_sel:DWORD src1_sel:WORD_1
	v_mul_f16_sdwa v44, v7, v34 dst_sel:DWORD dst_unused:UNUSED_PAD src0_sel:DWORD src1_sel:WORD_1
	;; [unrolled: 1-line block ×12, first 2 shown]
	v_fma_f16 v5, v5, v34, -v44
	v_fmac_f16_e32 v43, v4, v33
	v_fmac_f16_e32 v46, v7, v34
	v_fma_f16 v4, v38, v33, -v82
	v_fma_f16 v6, v6, v32, -v45
	;; [unrolled: 1-line block ×3, first 2 shown]
	v_fmac_f16_e32 v79, v28, v31
	v_fmac_f16_e32 v78, v39, v32
	v_fma_f16 v36, v36, v29, -v76
	v_fmac_f16_e32 v80, v40, v29
	v_fma_f16 v7, v11, v30, -v83
	v_fmac_f16_e32 v84, v41, v30
	v_add_f16_e32 v28, v4, v5
	v_add_f16_e32 v40, v43, v46
	v_sub_f16_e32 v38, v43, v46
	v_add_f16_e32 v39, v1, v43
	v_add_f16_e32 v43, v35, v6
	;; [unrolled: 1-line block ×4, first 2 shown]
	v_sub_f16_e32 v47, v79, v78
	v_add_f16_e32 v79, v36, v7
	v_add_f16_e32 v83, v80, v84
	;; [unrolled: 1-line block ×3, first 2 shown]
	v_sub_f16_e32 v4, v4, v5
	v_add_f16_e32 v41, v3, v35
	v_add_f16_e32 v76, v37, v36
	;; [unrolled: 1-line block ×3, first 2 shown]
	v_fmac_f16_e32 v1, -0.5, v40
	v_fma_f16 v2, -0.5, v28, v2
	v_sub_f16_e32 v35, v35, v6
	v_fmac_f16_e32 v3, -0.5, v43
	v_fmac_f16_e32 v42, -0.5, v45
	v_sub_f16_e32 v36, v36, v7
	v_sub_f16_e32 v80, v80, v84
	v_fmac_f16_e32 v37, -0.5, v79
	v_fmac_f16_e32 v77, -0.5, v83
	v_add_f16_e32 v5, v11, v5
	v_add_f16_e32 v39, v39, v46
	;; [unrolled: 1-line block ×5, first 2 shown]
	v_fmamk_f16 v41, v38, 0x3aee, v2
	v_fmac_f16_e32 v2, 0xbaee, v38
	v_fmamk_f16 v38, v4, 0xbaee, v1
	v_fmac_f16_e32 v1, 0x3aee, v4
	v_add_f16_e32 v40, v44, v78
	v_fmamk_f16 v4, v47, 0x3aee, v3
	v_fmamk_f16 v43, v35, 0xbaee, v42
	v_fmac_f16_e32 v3, 0xbaee, v47
	v_fmac_f16_e32 v42, 0x3aee, v35
	v_fmamk_f16 v11, v80, 0x3aee, v37
	v_fmamk_f16 v76, v36, 0xbaee, v77
	v_fmac_f16_e32 v37, 0xbaee, v80
	v_fmac_f16_e32 v77, 0x3aee, v36
	v_pack_b32_f16 v5, v5, v39
	v_pack_b32_f16 v7, v7, v28
	v_pack_b32_f16 v28, v41, v38
	v_pack_b32_f16 v1, v2, v1
	v_pack_b32_f16 v6, v6, v40
	v_pack_b32_f16 v2, v4, v43
	v_pack_b32_f16 v3, v3, v42
	v_pack_b32_f16 v4, v11, v76
	v_pack_b32_f16 v35, v37, v77
	ds_write2_b32 v75, v5, v28 offset1:54
	ds_write_b32 v75, v1 offset:432
	ds_write2_b32 v74, v6, v2 offset1:54
	ds_write_b32 v74, v3 offset:432
	;; [unrolled: 2-line block ×3, first 2 shown]
	s_waitcnt lgkmcnt(0)
	s_barrier
	buffer_gl0_inv
	ds_read2_b32 v[38:39], v49 offset1:162
	ds_read2_b32 v[46:47], v81 offset0:68 offset1:230
	ds_read2_b32 v[44:45], v48 offset0:8 offset1:170
	ds_read_b32 v84, v49 offset:3888
                                        ; implicit-def: $vgpr41
                                        ; implicit-def: $vgpr79
                                        ; implicit-def: $vgpr43
                                        ; implicit-def: $vgpr82
                                        ; implicit-def: $vgpr78
                                        ; implicit-def: $vgpr80
                                        ; implicit-def: $vgpr83
	s_and_saveexec_b32 s1, s0
	s_cbranch_execz .LBB0_9
; %bb.8:
	v_add_nc_u32_e32 v1, 0x100, v49
	v_add_nc_u32_e32 v2, 0xc00, v49
	ds_read2_b32 v[40:41], v0 offset0:66 offset1:228
	ds_read_b32 v78, v49 offset:4392
	ds_read2_b32 v[11:12], v1 offset0:62 offset1:224
	ds_read2_b32 v[42:43], v2 offset0:6 offset1:168
	s_waitcnt lgkmcnt(3)
	v_lshrrev_b32_e32 v79, 16, v41
	s_waitcnt lgkmcnt(2)
	v_lshrrev_b32_e32 v80, 16, v78
	;; [unrolled: 2-line block ×3, first 2 shown]
	v_lshrrev_b32_e32 v77, 16, v12
	s_waitcnt lgkmcnt(0)
	v_lshrrev_b32_e32 v83, 16, v42
	v_lshrrev_b32_e32 v82, 16, v43
	v_mov_b32_e32 v37, v12
	v_mov_b32_e32 v12, v40
.LBB0_9:
	s_or_b32 exec_lo, exec_lo, s1
	v_mad_u64_u32 v[0:1], null, v55, 24, s[2:3]
	s_waitcnt lgkmcnt(3)
	v_lshrrev_b32_e32 v40, 16, v39
	s_waitcnt lgkmcnt(2)
	v_lshrrev_b32_e32 v85, 16, v46
	v_lshrrev_b32_e32 v86, 16, v47
	s_waitcnt lgkmcnt(1)
	v_lshrrev_b32_e32 v87, 16, v44
	;; [unrolled: 3-line block ×3, first 2 shown]
	s_clause 0x1
	global_load_dwordx4 v[4:7], v[0:1], off offset:640
	global_load_dwordx2 v[35:36], v[0:1], off offset:656
	v_subrev_nc_u32_e32 v0, 36, v55
	v_lshrrev_b32_e32 v90, 16, v12
	v_cndmask_b32_e64 v0, v0, v27, s0
	v_mul_i32_i24_e32 v1, 24, v0
	v_mul_hi_i32_i24_e32 v0, 24, v0
	v_add_co_u32 v27, s1, s2, v1
	v_add_co_ci_u32_e64 v28, s1, s3, v0, s1
	s_clause 0x1
	global_load_dwordx4 v[0:3], v[27:28], off offset:640
	global_load_dwordx2 v[27:28], v[27:28], off offset:656
	s_waitcnt vmcnt(3)
	v_mul_f16_sdwa v91, v40, v4 dst_sel:DWORD dst_unused:UNUSED_PAD src0_sel:DWORD src1_sel:WORD_1
	v_mul_f16_sdwa v92, v39, v4 dst_sel:DWORD dst_unused:UNUSED_PAD src0_sel:DWORD src1_sel:WORD_1
	;; [unrolled: 1-line block ×8, first 2 shown]
	s_waitcnt vmcnt(2)
	v_mul_f16_sdwa v99, v88, v35 dst_sel:DWORD dst_unused:UNUSED_PAD src0_sel:DWORD src1_sel:WORD_1
	v_mul_f16_sdwa v100, v45, v35 dst_sel:DWORD dst_unused:UNUSED_PAD src0_sel:DWORD src1_sel:WORD_1
	;; [unrolled: 1-line block ×4, first 2 shown]
	v_fma_f16 v39, v39, v4, -v91
	v_fmac_f16_e32 v92, v40, v4
	v_fma_f16 v40, v46, v5, -v93
	v_fmac_f16_e32 v94, v85, v5
	;; [unrolled: 2-line block ×3, first 2 shown]
	v_fma_f16 v44, v44, v7, -v97
	v_fma_f16 v47, v84, v36, -v101
	v_fmac_f16_e32 v102, v89, v36
	v_fmac_f16_e32 v98, v87, v7
	v_fma_f16 v45, v45, v35, -v99
	v_fmac_f16_e32 v100, v88, v35
	v_add_f16_e32 v84, v39, v47
	v_add_f16_e32 v85, v92, v102
	v_sub_f16_e32 v39, v39, v47
	v_sub_f16_e32 v47, v92, v102
	v_add_f16_e32 v86, v40, v45
	v_add_f16_e32 v87, v94, v100
	v_sub_f16_e32 v40, v40, v45
	v_sub_f16_e32 v45, v94, v100
	;; [unrolled: 4-line block ×3, first 2 shown]
	s_waitcnt vmcnt(1)
	v_mul_f16_sdwa v91, v77, v0 dst_sel:DWORD dst_unused:UNUSED_PAD src0_sel:DWORD src1_sel:WORD_1
	v_mul_f16_sdwa v92, v37, v0 dst_sel:DWORD dst_unused:UNUSED_PAD src0_sel:DWORD src1_sel:WORD_1
	;; [unrolled: 1-line block ×4, first 2 shown]
	s_waitcnt vmcnt(0)
	v_mul_f16_sdwa v99, v82, v27 dst_sel:DWORD dst_unused:UNUSED_PAD src0_sel:DWORD src1_sel:WORD_1
	v_mul_f16_sdwa v100, v43, v27 dst_sel:DWORD dst_unused:UNUSED_PAD src0_sel:DWORD src1_sel:WORD_1
	v_mul_f16_sdwa v101, v80, v28 dst_sel:DWORD dst_unused:UNUSED_PAD src0_sel:DWORD src1_sel:WORD_1
	v_mul_f16_sdwa v102, v78, v28 dst_sel:DWORD dst_unused:UNUSED_PAD src0_sel:DWORD src1_sel:WORD_1
	v_mul_f16_sdwa v95, v79, v2 dst_sel:DWORD dst_unused:UNUSED_PAD src0_sel:DWORD src1_sel:WORD_1
	v_mul_f16_sdwa v96, v41, v2 dst_sel:DWORD dst_unused:UNUSED_PAD src0_sel:DWORD src1_sel:WORD_1
	v_mul_f16_sdwa v97, v83, v3 dst_sel:DWORD dst_unused:UNUSED_PAD src0_sel:DWORD src1_sel:WORD_1
	v_mul_f16_sdwa v98, v42, v3 dst_sel:DWORD dst_unused:UNUSED_PAD src0_sel:DWORD src1_sel:WORD_1
	v_add_f16_e32 v103, v86, v84
	v_add_f16_e32 v104, v87, v85
	v_sub_f16_e32 v106, v87, v85
	v_sub_f16_e32 v85, v85, v89
	v_add_f16_e32 v107, v44, v40
	v_add_f16_e32 v108, v46, v45
	v_sub_f16_e32 v109, v44, v40
	v_sub_f16_e32 v110, v46, v45
	;; [unrolled: 1-line block ×4, first 2 shown]
	v_fma_f16 v37, v37, v0, -v91
	v_fmac_f16_e32 v92, v77, v0
	v_fma_f16 v12, v12, v1, -v93
	v_fmac_f16_e32 v94, v90, v1
	;; [unrolled: 2-line block ×4, first 2 shown]
	v_sub_f16_e32 v105, v86, v84
	v_sub_f16_e32 v84, v84, v88
	;; [unrolled: 1-line block ×6, first 2 shown]
	v_fma_f16 v41, v41, v2, -v95
	v_fmac_f16_e32 v96, v79, v2
	v_fma_f16 v42, v42, v3, -v97
	v_fmac_f16_e32 v98, v83, v3
	v_add_f16_e32 v78, v88, v103
	v_add_f16_e32 v79, v89, v104
	v_mul_f16_e32 v82, 0x3a52, v85
	v_mul_f16_e32 v85, 0xb846, v109
	;; [unrolled: 1-line block ×5, first 2 shown]
	v_add_f16_e32 v91, v37, v77
	v_add_f16_e32 v93, v92, v102
	v_sub_f16_e32 v37, v37, v77
	v_sub_f16_e32 v77, v92, v102
	v_add_f16_e32 v92, v12, v43
	v_add_f16_e32 v95, v94, v100
	;; [unrolled: 1-line block ×4, first 2 shown]
	v_mul_f16_e32 v80, 0x3a52, v84
	v_mul_f16_e32 v83, 0x2b26, v86
	;; [unrolled: 1-line block ×3, first 2 shown]
	v_sub_f16_e32 v12, v12, v43
	v_sub_f16_e32 v43, v94, v100
	v_add_f16_e32 v94, v41, v42
	v_add_f16_e32 v97, v96, v98
	v_sub_f16_e32 v41, v42, v41
	v_sub_f16_e32 v42, v98, v96
	v_add_f16_e32 v96, v38, v78
	v_add_f16_sdwa v38, v38, v79 dst_sel:DWORD dst_unused:UNUSED_PAD src0_sel:WORD_1 src1_sel:DWORD
	v_fmamk_f16 v98, v44, 0x3574, v85
	v_fmamk_f16 v99, v46, 0x3574, v88
	v_fma_f16 v40, v40, 0x3b00, -v85
	v_fma_f16 v45, v45, 0x3b00, -v88
	;; [unrolled: 1-line block ×4, first 2 shown]
	v_add_f16_e32 v85, v92, v91
	v_add_f16_e32 v88, v95, v93
	v_fmamk_f16 v86, v86, 0x2b26, v80
	v_fmamk_f16 v87, v87, 0x2b26, v82
	v_fma_f16 v83, v105, 0x39e0, -v83
	v_fma_f16 v84, v106, 0x39e0, -v84
	v_fma_f16 v80, v105, 0xb9e0, -v80
	v_fma_f16 v82, v106, 0xb9e0, -v82
	v_sub_f16_e32 v89, v92, v91
	v_sub_f16_e32 v90, v95, v93
	;; [unrolled: 1-line block ×6, first 2 shown]
	v_add_f16_e32 v100, v41, v12
	v_add_f16_e32 v101, v42, v43
	v_sub_f16_e32 v102, v41, v12
	v_sub_f16_e32 v103, v42, v43
	;; [unrolled: 1-line block ×4, first 2 shown]
	v_fmamk_f16 v12, v78, 0xbcab, v96
	v_fmamk_f16 v78, v79, 0xbcab, v38
	v_fmac_f16_e32 v98, 0x370e, v39
	v_fmac_f16_e32 v99, 0x370e, v47
	;; [unrolled: 1-line block ×6, first 2 shown]
	v_pack_b32_f16 v47, v96, v38
	v_add_f16_e32 v38, v94, v85
	v_add_f16_e32 v39, v97, v88
	v_sub_f16_e32 v41, v37, v41
	v_sub_f16_e32 v42, v77, v42
	v_mul_f16_e32 v79, 0x3a52, v91
	v_mul_f16_e32 v85, 0x3a52, v93
	;; [unrolled: 1-line block ×8, first 2 shown]
	v_add_f16_e32 v86, v86, v12
	v_add_f16_e32 v87, v87, v78
	;; [unrolled: 1-line block ×10, first 2 shown]
	v_fmamk_f16 v76, v92, 0x2b26, v79
	v_fmamk_f16 v82, v95, 0x2b26, v85
	v_fma_f16 v88, v89, 0x39e0, -v88
	v_fma_f16 v91, v90, 0x39e0, -v91
	;; [unrolled: 1-line block ×4, first 2 shown]
	v_fmamk_f16 v89, v41, 0x3574, v93
	v_fmamk_f16 v90, v42, 0x3574, v94
	v_fma_f16 v92, v104, 0x3b00, -v93
	v_fma_f16 v43, v43, 0x3b00, -v94
	;; [unrolled: 1-line block ×4, first 2 shown]
	v_add_f16_e32 v93, v99, v86
	v_sub_f16_e32 v94, v87, v98
	v_add_f16_e32 v95, v46, v80
	v_sub_f16_e32 v96, v78, v44
	v_sub_f16_e32 v97, v83, v45
	v_add_f16_e32 v100, v40, v84
	v_add_f16_e32 v45, v45, v83
	v_sub_f16_e32 v40, v84, v40
	v_sub_f16_e32 v46, v80, v46
	v_add_f16_e32 v44, v44, v78
	v_sub_f16_e32 v78, v86, v99
	v_add_f16_e32 v80, v98, v87
	v_fmamk_f16 v38, v38, 0xbcab, v11
	v_fmamk_f16 v39, v39, 0xbcab, v12
	v_fmac_f16_e32 v89, 0x370e, v37
	v_fmac_f16_e32 v90, 0x370e, v77
	;; [unrolled: 1-line block ×6, first 2 shown]
	v_pack_b32_f16 v86, v93, v94
	v_pack_b32_f16 v45, v45, v40
	;; [unrolled: 1-line block ×4, first 2 shown]
	v_add_f16_e32 v80, v76, v38
	v_add_f16_e32 v94, v82, v39
	v_add_f16_e32 v40, v88, v38
	v_add_f16_e32 v78, v79, v38
	v_add_f16_e32 v79, v85, v39
	v_add_f16_e32 v77, v91, v39
	v_add_f16_e32 v82, v90, v80
	v_sub_f16_e32 v83, v94, v89
	v_add_f16_e32 v37, v42, v78
	v_sub_f16_e32 v84, v79, v41
	v_sub_f16_e32 v38, v40, v43
	v_add_f16_e32 v76, v92, v77
	v_add_f16_e32 v39, v43, v40
	v_sub_f16_e32 v77, v77, v92
	v_sub_f16_e32 v40, v78, v42
	v_add_f16_e32 v78, v41, v79
	v_sub_f16_e32 v79, v80, v90
	v_add_f16_e32 v80, v89, v94
	v_pack_b32_f16 v87, v95, v96
	v_pack_b32_f16 v93, v97, v100
	ds_write2_b32 v49, v47, v86 offset1:162
	ds_write2_b32 v81, v87, v93 offset0:68 offset1:230
	ds_write2_b32 v48, v45, v44 offset0:8 offset1:170
	ds_write_b32 v49, v46 offset:3888
	s_and_saveexec_b32 s1, s0
	s_cbranch_execz .LBB0_11
; %bb.10:
	v_perm_b32 v11, v12, v11, 0x5040100
	v_perm_b32 v12, v83, v82, 0x5040100
	v_add_nc_u32_e32 v41, 0x100, v49
	v_perm_b32 v42, v84, v37, 0x5040100
	v_perm_b32 v43, v76, v38, 0x5040100
	v_add_nc_u32_e32 v44, 0x600, v49
	;; [unrolled: 3-line block ×3, first 2 shown]
	v_perm_b32 v48, v80, v79, 0x5040100
	ds_write2_b32 v41, v11, v12 offset0:62 offset1:224
	ds_write2_b32 v44, v42, v43 offset0:66 offset1:228
	;; [unrolled: 1-line block ×3, first 2 shown]
	ds_write_b32 v49, v48 offset:4392
.LBB0_11:
	s_or_b32 exec_lo, exec_lo, s1
	v_add_co_u32 v11, s1, 0x1000, v8
	v_add_co_ci_u32_e64 v12, s1, 0, v9, s1
	s_waitcnt lgkmcnt(0)
	s_barrier
	buffer_gl0_inv
	global_load_dword v47, v[11:12], off offset:440
	v_add_co_u32 v41, s1, 0x11b8, v8
	v_add_co_ci_u32_e64 v42, s1, 0, v9, s1
	v_add_co_u32 v43, s1, 0x1800, v8
	v_add_co_ci_u32_e64 v44, s1, 0, v9, s1
	global_load_dword v81, v[41:42], off offset:504
	v_add_co_u32 v45, s1, 0x2000, v8
	global_load_dword v91, v[43:44], off offset:660
	v_add_co_ci_u32_e64 v46, s1, 0, v9, s1
	s_clause 0x4
	global_load_dword v92, v[43:44], off offset:1164
	global_load_dword v93, v[41:42], off offset:1008
	;; [unrolled: 1-line block ×5, first 2 shown]
	ds_read2_b32 v[43:44], v49 offset1:126
	s_waitcnt lgkmcnt(0)
	v_lshrrev_b32_e32 v45, 16, v43
	s_waitcnt vmcnt(7)
	v_mul_f16_sdwa v48, v45, v47 dst_sel:DWORD dst_unused:UNUSED_PAD src0_sel:DWORD src1_sel:WORD_1
	v_mul_f16_sdwa v85, v43, v47 dst_sel:DWORD dst_unused:UNUSED_PAD src0_sel:DWORD src1_sel:WORD_1
	v_fma_f16 v43, v43, v47, -v48
	v_fmac_f16_e32 v85, v45, v47
	v_add_nc_u32_e32 v45, 0x800, v49
	v_add_nc_u32_e32 v47, 0x200, v49
	;; [unrolled: 1-line block ×3, first 2 shown]
	s_waitcnt vmcnt(6)
	v_mul_f16_sdwa v97, v44, v81 dst_sel:DWORD dst_unused:UNUSED_PAD src0_sel:DWORD src1_sel:WORD_1
	v_pack_b32_f16 v43, v43, v85
	ds_write_b32 v49, v43
	ds_read2_b32 v[85:86], v45 offset0:55 offset1:181
	ds_read2_b32 v[87:88], v47 offset0:124 offset1:250
	ds_read2_b32 v[89:90], v48 offset0:51 offset1:177
	v_lshrrev_b32_e32 v43, 16, v44
	v_mul_f16_sdwa v96, v43, v81 dst_sel:DWORD dst_unused:UNUSED_PAD src0_sel:DWORD src1_sel:WORD_1
	v_fmac_f16_e32 v97, v43, v81
	v_add_nc_u32_e32 v43, 0xa00, v49
	v_fma_f16 v44, v44, v81, -v96
	v_add_nc_u32_e32 v81, 0x500, v49
	v_pack_b32_f16 v44, v44, v97
	s_waitcnt lgkmcnt(1)
	v_lshrrev_b32_e32 v100, 16, v87
	v_lshrrev_b32_e32 v96, 16, v85
	s_waitcnt vmcnt(5)
	v_mul_f16_sdwa v97, v85, v91 dst_sel:DWORD dst_unused:UNUSED_PAD src0_sel:DWORD src1_sel:WORD_1
	v_lshrrev_b32_e32 v98, 16, v86
	s_waitcnt vmcnt(4)
	v_mul_f16_sdwa v99, v86, v92 dst_sel:DWORD dst_unused:UNUSED_PAD src0_sel:DWORD src1_sel:WORD_1
	s_waitcnt vmcnt(3)
	v_mul_f16_sdwa v101, v87, v93 dst_sel:DWORD dst_unused:UNUSED_PAD src0_sel:DWORD src1_sel:WORD_1
	s_waitcnt lgkmcnt(0)
	v_lshrrev_b32_e32 v102, 16, v89
	s_waitcnt vmcnt(2)
	v_mul_f16_sdwa v103, v89, v94 dst_sel:DWORD dst_unused:UNUSED_PAD src0_sel:DWORD src1_sel:WORD_1
	v_lshrrev_b32_e32 v104, 16, v88
	s_waitcnt vmcnt(0)
	v_mul_f16_sdwa v105, v88, v95 dst_sel:DWORD dst_unused:UNUSED_PAD src0_sel:DWORD src1_sel:WORD_1
	v_lshrrev_b32_e32 v106, 16, v90
	v_mul_f16_sdwa v108, v96, v91 dst_sel:DWORD dst_unused:UNUSED_PAD src0_sel:DWORD src1_sel:WORD_1
	v_fmac_f16_e32 v97, v96, v91
	v_mul_f16_sdwa v96, v98, v92 dst_sel:DWORD dst_unused:UNUSED_PAD src0_sel:DWORD src1_sel:WORD_1
	v_fmac_f16_e32 v99, v98, v92
	;; [unrolled: 2-line block ×4, first 2 shown]
	v_mul_f16_sdwa v102, v104, v95 dst_sel:DWORD dst_unused:UNUSED_PAD src0_sel:DWORD src1_sel:WORD_1
	v_mul_f16_sdwa v107, v90, v46 dst_sel:DWORD dst_unused:UNUSED_PAD src0_sel:DWORD src1_sel:WORD_1
	v_fmac_f16_e32 v105, v104, v95
	v_mul_f16_sdwa v104, v106, v46 dst_sel:DWORD dst_unused:UNUSED_PAD src0_sel:DWORD src1_sel:WORD_1
	v_fma_f16 v87, v87, v93, -v98
	v_fma_f16 v86, v86, v92, -v96
	v_fma_f16 v89, v89, v94, -v100
	v_fma_f16 v85, v85, v91, -v108
	v_fma_f16 v88, v88, v95, -v102
	v_fmac_f16_e32 v107, v106, v46
	v_fma_f16 v46, v90, v46, -v104
	v_pack_b32_f16 v87, v87, v101
	v_pack_b32_f16 v86, v86, v99
	v_pack_b32_f16 v89, v89, v103
	v_pack_b32_f16 v85, v85, v97
	v_pack_b32_f16 v88, v88, v105
	v_pack_b32_f16 v46, v46, v107
	ds_write2_b32 v49, v44, v87 offset0:126 offset1:252
	ds_write2_b32 v43, v86, v89 offset0:53 offset1:179
	;; [unrolled: 1-line block ×3, first 2 shown]
	ds_write_b32 v49, v46 offset:3780
	s_and_saveexec_b32 s2, vcc_lo
	s_cbranch_execz .LBB0_13
; %bb.12:
	v_add_co_u32 v43, s1, 0x1000, v41
	v_add_co_ci_u32_e64 v44, s1, 0, v42, s1
	s_clause 0x1
	global_load_dword v41, v[41:42], off offset:2016
	global_load_dword v42, v[43:44], off offset:188
	ds_read_b32 v43, v49 offset:2016
	ds_read_b32 v44, v49 offset:4284
	s_waitcnt lgkmcnt(1)
	v_lshrrev_b32_e32 v46, 16, v43
	s_waitcnt lgkmcnt(0)
	v_lshrrev_b32_e32 v81, 16, v44
	s_waitcnt vmcnt(1)
	v_mul_f16_sdwa v85, v46, v41 dst_sel:DWORD dst_unused:UNUSED_PAD src0_sel:DWORD src1_sel:WORD_1
	v_mul_f16_sdwa v86, v43, v41 dst_sel:DWORD dst_unused:UNUSED_PAD src0_sel:DWORD src1_sel:WORD_1
	s_waitcnt vmcnt(0)
	v_mul_f16_sdwa v87, v81, v42 dst_sel:DWORD dst_unused:UNUSED_PAD src0_sel:DWORD src1_sel:WORD_1
	v_mul_f16_sdwa v88, v44, v42 dst_sel:DWORD dst_unused:UNUSED_PAD src0_sel:DWORD src1_sel:WORD_1
	v_fma_f16 v43, v43, v41, -v85
	v_fmac_f16_e32 v86, v46, v41
	v_fma_f16 v41, v44, v42, -v87
	v_fmac_f16_e32 v88, v81, v42
	v_pack_b32_f16 v42, v43, v86
	v_pack_b32_f16 v41, v41, v88
	ds_write_b32 v49, v42 offset:2016
	ds_write_b32 v49, v41 offset:4284
.LBB0_13:
	s_or_b32 exec_lo, exec_lo, s2
	s_waitcnt lgkmcnt(0)
	s_barrier
	buffer_gl0_inv
	ds_read2_b32 v[43:44], v49 offset1:126
	ds_read2_b32 v[45:46], v45 offset0:55 offset1:181
	ds_read2_b32 v[41:42], v47 offset0:124 offset1:250
	;; [unrolled: 1-line block ×3, first 2 shown]
	v_add_nc_u32_e32 v63, 0xbd0, v63
	s_and_saveexec_b32 s1, vcc_lo
	s_cbranch_execz .LBB0_15
; %bb.14:
	ds_read_b32 v82, v49 offset:2016
	ds_read_b32 v37, v49 offset:4284
	s_waitcnt lgkmcnt(1)
	v_lshrrev_b32_e32 v83, 16, v82
	s_waitcnt lgkmcnt(0)
	v_lshrrev_b32_e32 v84, 16, v37
.LBB0_15:
	s_or_b32 exec_lo, exec_lo, s1
	s_waitcnt lgkmcnt(2)
	v_pk_add_f16 v85, v43, v45 neg_lo:[0,1] neg_hi:[0,1]
	v_pk_add_f16 v87, v44, v46 neg_lo:[0,1] neg_hi:[0,1]
	s_waitcnt lgkmcnt(0)
	v_pk_add_f16 v47, v41, v47 neg_lo:[0,1] neg_hi:[0,1]
	v_pk_add_f16 v89, v42, v48 neg_lo:[0,1] neg_hi:[0,1]
	v_sub_f16_e32 v37, v82, v37
	v_sub_f16_e32 v45, v83, v84
	v_pk_fma_f16 v84, v43, 2.0, v85 op_sel_hi:[1,0,1] neg_lo:[0,0,1] neg_hi:[0,0,1]
	v_pk_fma_f16 v86, v44, 2.0, v87 op_sel_hi:[1,0,1] neg_lo:[0,0,1] neg_hi:[0,0,1]
	;; [unrolled: 1-line block ×4, first 2 shown]
	s_barrier
	buffer_gl0_inv
	ds_write_b64 v59, v[84:85]
	ds_write_b64 v61, v[86:87]
	;; [unrolled: 1-line block ×4, first 2 shown]
	s_and_saveexec_b32 s1, vcc_lo
	s_cbranch_execz .LBB0_17
; %bb.16:
	v_fma_f16 v41, v82, 2.0, -v37
	v_fma_f16 v42, v83, 2.0, -v45
	v_pack_b32_f16 v41, v41, v42
	v_perm_b32 v42, v45, v37, 0x5040100
	ds_write_b64 v60, v[41:42]
.LBB0_17:
	s_or_b32 exec_lo, exec_lo, s1
	v_add_nc_u32_e32 v43, 0x200, v49
	v_add_nc_u32_e32 v41, 0xa00, v49
	;; [unrolled: 1-line block ×3, first 2 shown]
	s_waitcnt lgkmcnt(0)
	s_barrier
	buffer_gl0_inv
	ds_read2_b32 v[46:47], v49 offset1:126
	ds_read_b32 v44, v49 offset:4032
	ds_read2_b32 v[59:60], v43 offset0:124 offset1:250
	ds_read2_b32 v[61:62], v41 offset0:116 offset1:242
	;; [unrolled: 1-line block ×3, first 2 shown]
	s_waitcnt lgkmcnt(0)
	s_barrier
	buffer_gl0_inv
	v_lshrrev_b32_e32 v83, 16, v44
	v_lshrrev_b32_e32 v84, 16, v60
	;; [unrolled: 1-line block ×5, first 2 shown]
	v_mul_f16_sdwa v90, v13, v60 dst_sel:DWORD dst_unused:UNUSED_PAD src0_sel:WORD_1 src1_sel:DWORD
	v_mul_f16_sdwa v91, v14, v61 dst_sel:DWORD dst_unused:UNUSED_PAD src0_sel:WORD_1 src1_sel:DWORD
	;; [unrolled: 1-line block ×3, first 2 shown]
	v_lshrrev_b32_e32 v89, 16, v82
	v_mul_f16_sdwa v94, v13, v84 dst_sel:DWORD dst_unused:UNUSED_PAD src0_sel:WORD_1 src1_sel:DWORD
	v_fma_f16 v84, v13, v84, -v90
	v_mul_f16_sdwa v90, v14, v85 dst_sel:DWORD dst_unused:UNUSED_PAD src0_sel:WORD_1 src1_sel:DWORD
	v_fma_f16 v85, v14, v85, -v91
	;; [unrolled: 2-line block ×3, first 2 shown]
	v_mul_f16_sdwa v92, v14, v87 dst_sel:DWORD dst_unused:UNUSED_PAD src0_sel:WORD_1 src1_sel:DWORD
	v_mul_f16_sdwa v93, v14, v62 dst_sel:DWORD dst_unused:UNUSED_PAD src0_sel:WORD_1 src1_sel:DWORD
	;; [unrolled: 1-line block ×3, first 2 shown]
	v_fmac_f16_e32 v94, v13, v60
	v_fmac_f16_e32 v90, v14, v61
	;; [unrolled: 1-line block ×4, first 2 shown]
	v_mul_f16_sdwa v60, v13, v82 dst_sel:DWORD dst_unused:UNUSED_PAD src0_sel:WORD_1 src1_sel:DWORD
	v_mul_f16_sdwa v62, v14, v83 dst_sel:DWORD dst_unused:UNUSED_PAD src0_sel:WORD_1 src1_sel:DWORD
	;; [unrolled: 1-line block ×3, first 2 shown]
	v_lshrrev_b32_e32 v48, 16, v46
	v_fma_f16 v61, v14, v87, -v93
	v_fmac_f16_e32 v95, v13, v82
	v_fma_f16 v13, v13, v89, -v60
	v_add_f16_e32 v60, v94, v90
	v_fmac_f16_e32 v62, v14, v44
	v_fma_f16 v14, v14, v83, -v81
	v_add_f16_e32 v81, v84, v85
	v_add_f16_e32 v44, v46, v94
	v_fma_f16 v46, -0.5, v60, v46
	v_sub_f16_e32 v60, v84, v85
	v_add_f16_e32 v82, v48, v84
	v_fmac_f16_e32 v48, -0.5, v81
	v_sub_f16_e32 v81, v94, v90
	v_lshrrev_b32_e32 v63, 16, v47
	v_fmamk_f16 v83, v60, 0xbaee, v46
	v_fmac_f16_e32 v46, 0x3aee, v60
	v_add_f16_e32 v60, v82, v85
	v_add_f16_e32 v82, v91, v92
	v_fmamk_f16 v84, v81, 0x3aee, v48
	v_fmac_f16_e32 v48, 0xbaee, v81
	v_add_f16_e32 v81, v86, v61
	v_add_f16_e32 v85, v47, v91
	v_fmac_f16_e32 v47, -0.5, v82
	v_sub_f16_e32 v82, v86, v61
	v_add_f16_e32 v86, v63, v86
	v_fmac_f16_e32 v63, -0.5, v81
	v_sub_f16_e32 v81, v91, v92
	v_lshrrev_b32_e32 v88, 16, v59
	v_fmamk_f16 v87, v82, 0xbaee, v47
	v_fmac_f16_e32 v47, 0x3aee, v82
	v_add_f16_e32 v61, v86, v61
	v_add_f16_e32 v82, v95, v62
	v_fmamk_f16 v86, v81, 0x3aee, v63
	v_fmac_f16_e32 v63, 0xbaee, v81
	v_add_f16_e32 v81, v13, v14
	v_add_f16_e32 v44, v44, v90
	;; [unrolled: 1-line block ×3, first 2 shown]
	v_fmac_f16_e32 v59, -0.5, v82
	v_sub_f16_e32 v82, v13, v14
	v_add_f16_e32 v13, v88, v13
	v_fmac_f16_e32 v88, -0.5, v81
	v_sub_f16_e32 v81, v95, v62
	v_pack_b32_f16 v44, v44, v60
	v_pack_b32_f16 v60, v83, v84
	v_add_f16_e32 v85, v85, v92
	v_add_f16_e32 v62, v89, v62
	v_fmamk_f16 v89, v82, 0xbaee, v59
	v_add_f16_e32 v13, v13, v14
	v_fmamk_f16 v14, v81, 0x3aee, v88
	v_fmac_f16_e32 v59, 0x3aee, v82
	v_fmac_f16_e32 v88, 0xbaee, v81
	ds_write2_b32 v66, v44, v60 offset1:2
	v_pack_b32_f16 v44, v46, v48
	v_pack_b32_f16 v46, v85, v61
	v_pack_b32_f16 v48, v87, v86
	v_pack_b32_f16 v47, v47, v63
	v_pack_b32_f16 v13, v62, v13
	v_pack_b32_f16 v14, v89, v14
	v_pack_b32_f16 v59, v59, v88
	ds_write_b32 v66, v44 offset:16
	ds_write2_b32 v65, v46, v48 offset1:2
	ds_write_b32 v65, v47 offset:16
	ds_write2_b32 v64, v13, v14 offset1:2
	ds_write_b32 v64, v59 offset:16
	s_waitcnt lgkmcnt(0)
	s_barrier
	buffer_gl0_inv
	ds_read2_b32 v[13:14], v49 offset1:126
	ds_read2_b32 v[46:47], v43 offset0:124 offset1:250
	ds_read2_b32 v[59:60], v41 offset0:116 offset1:242
	;; [unrolled: 1-line block ×3, first 2 shown]
	ds_read_b32 v44, v49 offset:4032
	s_waitcnt lgkmcnt(0)
	s_barrier
	buffer_gl0_inv
	v_lshrrev_b32_e32 v48, 16, v13
	v_lshrrev_b32_e32 v63, 16, v47
	;; [unrolled: 1-line block ×4, first 2 shown]
	v_mul_f16_sdwa v85, v19, v47 dst_sel:DWORD dst_unused:UNUSED_PAD src0_sel:WORD_1 src1_sel:DWORD
	v_lshrrev_b32_e32 v81, 16, v60
	v_mul_f16_sdwa v83, v19, v63 dst_sel:DWORD dst_unused:UNUSED_PAD src0_sel:WORD_1 src1_sel:DWORD
	v_mul_f16_sdwa v87, v20, v64 dst_sel:DWORD dst_unused:UNUSED_PAD src0_sel:WORD_1 src1_sel:DWORD
	v_lshrrev_b32_e32 v84, 16, v62
	v_lshrrev_b32_e32 v86, 16, v44
	;; [unrolled: 1-line block ×3, first 2 shown]
	v_fmac_f16_e32 v83, v19, v47
	v_mul_f16_sdwa v47, v20, v59 dst_sel:DWORD dst_unused:UNUSED_PAD src0_sel:WORD_1 src1_sel:DWORD
	v_fma_f16 v19, v19, v63, -v85
	v_mul_f16_sdwa v63, v17, v66 dst_sel:DWORD dst_unused:UNUSED_PAD src0_sel:WORD_1 src1_sel:DWORD
	v_fmac_f16_e32 v87, v20, v59
	v_mul_f16_sdwa v59, v17, v61 dst_sel:DWORD dst_unused:UNUSED_PAD src0_sel:WORD_1 src1_sel:DWORD
	v_fma_f16 v20, v20, v64, -v47
	v_mul_f16_sdwa v47, v18, v81 dst_sel:DWORD dst_unused:UNUSED_PAD src0_sel:WORD_1 src1_sel:DWORD
	;; [unrolled: 4-line block ×4, first 2 shown]
	v_fmac_f16_e32 v59, v15, v62
	v_mul_f16_sdwa v62, v16, v44 dst_sel:DWORD dst_unused:UNUSED_PAD src0_sel:WORD_1 src1_sel:DWORD
	v_fma_f16 v15, v15, v84, -v60
	v_add_f16_e32 v60, v83, v87
	v_fmac_f16_e32 v61, v16, v44
	v_add_f16_e32 v44, v13, v83
	v_fma_f16 v16, v16, v86, -v62
	v_add_f16_e32 v62, v19, v20
	v_fma_f16 v13, -0.5, v60, v13
	v_sub_f16_e32 v60, v19, v20
	v_add_f16_e32 v19, v48, v19
	v_add_f16_e32 v66, v14, v63
	v_fmac_f16_e32 v48, -0.5, v62
	v_sub_f16_e32 v62, v83, v87
	v_fmamk_f16 v64, v60, 0xbaee, v13
	v_add_f16_e32 v19, v19, v20
	v_add_f16_e32 v20, v63, v47
	v_fmac_f16_e32 v13, 0x3aee, v60
	v_fmamk_f16 v60, v62, 0x3aee, v48
	v_fmac_f16_e32 v48, 0xbaee, v62
	v_add_f16_e32 v62, v17, v18
	v_fmac_f16_e32 v14, -0.5, v20
	v_sub_f16_e32 v20, v17, v18
	v_add_f16_e32 v17, v65, v17
	v_add_f16_e32 v66, v66, v47
	v_fmac_f16_e32 v65, -0.5, v62
	v_sub_f16_e32 v47, v63, v47
	v_lshrrev_b32_e32 v82, 16, v46
	v_add_f16_e32 v17, v17, v18
	v_add_f16_e32 v18, v59, v61
	v_fmamk_f16 v62, v20, 0xbaee, v14
	v_fmac_f16_e32 v14, 0x3aee, v20
	v_fmamk_f16 v20, v47, 0x3aee, v65
	v_fmac_f16_e32 v65, 0xbaee, v47
	v_add_f16_e32 v47, v15, v16
	v_add_f16_e32 v44, v44, v87
	;; [unrolled: 1-line block ×3, first 2 shown]
	v_fmac_f16_e32 v46, -0.5, v18
	v_sub_f16_e32 v18, v15, v16
	v_add_f16_e32 v15, v82, v15
	v_fmac_f16_e32 v82, -0.5, v47
	v_sub_f16_e32 v47, v59, v61
	v_add_f16_e32 v59, v63, v61
	v_fmamk_f16 v61, v18, 0xbaee, v46
	v_fmac_f16_e32 v46, 0x3aee, v18
	v_pack_b32_f16 v18, v44, v19
	v_pack_b32_f16 v19, v64, v60
	v_add_f16_e32 v15, v15, v16
	v_fmamk_f16 v16, v47, 0x3aee, v82
	v_fmac_f16_e32 v82, 0xbaee, v47
	v_pack_b32_f16 v13, v13, v48
	ds_write2_b32 v68, v18, v19 offset1:6
	v_pack_b32_f16 v17, v66, v17
	v_pack_b32_f16 v18, v62, v20
	;; [unrolled: 1-line block ×6, first 2 shown]
	ds_write_b32 v68, v13 offset:48
	ds_write2_b32 v67, v17, v18 offset1:6
	ds_write_b32 v67, v14 offset:48
	ds_write2_b32 v69, v15, v16 offset1:6
	ds_write_b32 v69, v19 offset:48
	s_waitcnt lgkmcnt(0)
	s_barrier
	buffer_gl0_inv
	ds_read2_b32 v[13:14], v49 offset1:126
	ds_read2_b32 v[15:16], v43 offset0:124 offset1:250
	ds_read2_b32 v[17:18], v41 offset0:116 offset1:242
	;; [unrolled: 1-line block ×3, first 2 shown]
	ds_read_b32 v44, v49 offset:4032
	s_waitcnt lgkmcnt(0)
	s_barrier
	buffer_gl0_inv
	v_lshrrev_b32_e32 v46, 16, v13
	v_lshrrev_b32_e32 v47, 16, v16
	;; [unrolled: 1-line block ×4, first 2 shown]
	v_mul_f16_sdwa v65, v25, v16 dst_sel:DWORD dst_unused:UNUSED_PAD src0_sel:WORD_1 src1_sel:DWORD
	v_lshrrev_b32_e32 v61, 16, v18
	v_mul_f16_sdwa v63, v25, v47 dst_sel:DWORD dst_unused:UNUSED_PAD src0_sel:WORD_1 src1_sel:DWORD
	v_mul_f16_sdwa v67, v26, v48 dst_sel:DWORD dst_unused:UNUSED_PAD src0_sel:WORD_1 src1_sel:DWORD
	v_lshrrev_b32_e32 v64, 16, v20
	v_lshrrev_b32_e32 v66, 16, v44
	;; [unrolled: 1-line block ×3, first 2 shown]
	v_fmac_f16_e32 v63, v25, v16
	v_mul_f16_sdwa v16, v26, v17 dst_sel:DWORD dst_unused:UNUSED_PAD src0_sel:WORD_1 src1_sel:DWORD
	v_fma_f16 v25, v25, v47, -v65
	v_mul_f16_sdwa v47, v23, v60 dst_sel:DWORD dst_unused:UNUSED_PAD src0_sel:WORD_1 src1_sel:DWORD
	v_fmac_f16_e32 v67, v26, v17
	v_mul_f16_sdwa v17, v23, v19 dst_sel:DWORD dst_unused:UNUSED_PAD src0_sel:WORD_1 src1_sel:DWORD
	v_fma_f16 v16, v26, v48, -v16
	v_mul_f16_sdwa v26, v24, v61 dst_sel:DWORD dst_unused:UNUSED_PAD src0_sel:WORD_1 src1_sel:DWORD
	;; [unrolled: 4-line block ×4, first 2 shown]
	v_fmac_f16_e32 v23, v21, v20
	v_mul_f16_sdwa v20, v22, v44 dst_sel:DWORD dst_unused:UNUSED_PAD src0_sel:WORD_1 src1_sel:DWORD
	v_fma_f16 v18, v21, v64, -v18
	v_add_f16_e32 v21, v63, v67
	v_fmac_f16_e32 v24, v22, v44
	v_add_f16_e32 v44, v13, v63
	v_fma_f16 v20, v22, v66, -v20
	v_add_f16_e32 v22, v25, v16
	v_fma_f16 v13, -0.5, v21, v13
	v_sub_f16_e32 v21, v25, v16
	v_add_f16_e32 v25, v46, v25
	v_add_f16_e32 v60, v14, v47
	v_fmac_f16_e32 v46, -0.5, v22
	v_sub_f16_e32 v22, v63, v67
	v_fmamk_f16 v48, v21, 0xbaee, v13
	v_fmac_f16_e32 v13, 0x3aee, v21
	v_add_f16_e32 v21, v47, v26
	v_add_f16_e32 v16, v25, v16
	v_fmamk_f16 v25, v22, 0x3aee, v46
	v_fmac_f16_e32 v46, 0xbaee, v22
	v_add_f16_e32 v22, v17, v19
	v_fmac_f16_e32 v14, -0.5, v21
	v_sub_f16_e32 v21, v17, v19
	v_add_f16_e32 v17, v59, v17
	v_lshrrev_b32_e32 v62, 16, v15
	v_fmac_f16_e32 v59, -0.5, v22
	v_sub_f16_e32 v22, v47, v26
	v_add_f16_e32 v60, v60, v26
	v_add_f16_e32 v17, v17, v19
	;; [unrolled: 1-line block ×3, first 2 shown]
	v_fmamk_f16 v26, v21, 0xbaee, v14
	v_fmac_f16_e32 v14, 0x3aee, v21
	v_fmamk_f16 v21, v22, 0x3aee, v59
	v_fmac_f16_e32 v59, 0xbaee, v22
	v_add_f16_e32 v22, v18, v20
	v_add_f16_e32 v44, v44, v67
	;; [unrolled: 1-line block ×3, first 2 shown]
	v_fmac_f16_e32 v15, -0.5, v19
	v_sub_f16_e32 v19, v18, v20
	v_add_f16_e32 v18, v62, v18
	v_fmac_f16_e32 v62, -0.5, v22
	v_sub_f16_e32 v22, v23, v24
	v_pack_b32_f16 v16, v44, v16
	v_add_f16_e32 v23, v47, v24
	v_add_f16_e32 v18, v18, v20
	v_pack_b32_f16 v20, v48, v25
	v_fmamk_f16 v24, v19, 0xbaee, v15
	v_fmac_f16_e32 v15, 0x3aee, v19
	v_fmamk_f16 v19, v22, 0x3aee, v62
	v_fmac_f16_e32 v62, 0xbaee, v22
	v_pack_b32_f16 v13, v13, v46
	ds_write2_b32 v70, v16, v20 offset1:18
	v_pack_b32_f16 v16, v60, v17
	v_pack_b32_f16 v17, v26, v21
	;; [unrolled: 1-line block ×6, first 2 shown]
	ds_write_b32 v70, v13 offset:144
	ds_write2_b32 v71, v16, v17 offset1:18
	ds_write_b32 v71, v14 offset:144
	ds_write2_b32 v72, v18, v19 offset1:18
	ds_write_b32 v72, v15 offset:144
	s_waitcnt lgkmcnt(0)
	s_barrier
	buffer_gl0_inv
	ds_read2_b32 v[15:16], v49 offset1:126
	ds_read2_b32 v[13:14], v43 offset0:124 offset1:250
	ds_read2_b32 v[17:18], v41 offset0:116 offset1:242
	;; [unrolled: 1-line block ×3, first 2 shown]
	ds_read_b32 v21, v49 offset:4032
	s_waitcnt lgkmcnt(0)
	s_barrier
	buffer_gl0_inv
	v_lshrrev_b32_e32 v24, 16, v15
	v_lshrrev_b32_e32 v23, 16, v14
	;; [unrolled: 1-line block ×4, first 2 shown]
	v_mul_f16_sdwa v48, v33, v14 dst_sel:DWORD dst_unused:UNUSED_PAD src0_sel:WORD_1 src1_sel:DWORD
	v_lshrrev_b32_e32 v44, 16, v18
	v_mul_f16_sdwa v46, v33, v23 dst_sel:DWORD dst_unused:UNUSED_PAD src0_sel:WORD_1 src1_sel:DWORD
	v_mul_f16_sdwa v60, v34, v25 dst_sel:DWORD dst_unused:UNUSED_PAD src0_sel:WORD_1 src1_sel:DWORD
	v_lshrrev_b32_e32 v47, 16, v20
	v_fma_f16 v23, v33, v23, -v48
	v_lshrrev_b32_e32 v59, 16, v21
	v_fmac_f16_e32 v46, v33, v14
	v_mul_f16_sdwa v14, v34, v17 dst_sel:DWORD dst_unused:UNUSED_PAD src0_sel:WORD_1 src1_sel:DWORD
	v_mul_f16_sdwa v33, v31, v43 dst_sel:DWORD dst_unused:UNUSED_PAD src0_sel:WORD_1 src1_sel:DWORD
	v_fmac_f16_e32 v60, v34, v17
	v_mul_f16_sdwa v17, v31, v19 dst_sel:DWORD dst_unused:UNUSED_PAD src0_sel:WORD_1 src1_sel:DWORD
	v_lshrrev_b32_e32 v26, 16, v16
	v_fma_f16 v14, v34, v25, -v14
	v_mul_f16_sdwa v25, v32, v44 dst_sel:DWORD dst_unused:UNUSED_PAD src0_sel:WORD_1 src1_sel:DWORD
	v_fmac_f16_e32 v33, v31, v19
	v_mul_f16_sdwa v19, v32, v18 dst_sel:DWORD dst_unused:UNUSED_PAD src0_sel:WORD_1 src1_sel:DWORD
	v_fma_f16 v17, v31, v43, -v17
	v_mul_f16_sdwa v31, v29, v47 dst_sel:DWORD dst_unused:UNUSED_PAD src0_sel:WORD_1 src1_sel:DWORD
	v_fmac_f16_e32 v25, v32, v18
	v_mul_f16_sdwa v18, v29, v20 dst_sel:DWORD dst_unused:UNUSED_PAD src0_sel:WORD_1 src1_sel:DWORD
	;; [unrolled: 4-line block ×3, first 2 shown]
	v_fma_f16 v18, v29, v47, -v18
	v_add_f16_e32 v29, v46, v60
	v_fmac_f16_e32 v32, v30, v21
	v_add_f16_e32 v21, v15, v46
	v_fma_f16 v20, v30, v59, -v20
	v_add_f16_e32 v30, v23, v14
	v_fma_f16 v15, -0.5, v29, v15
	v_sub_f16_e32 v29, v23, v14
	v_add_f16_e32 v23, v24, v23
	v_lshrrev_b32_e32 v22, 16, v13
	v_fmac_f16_e32 v24, -0.5, v30
	v_sub_f16_e32 v30, v46, v60
	v_fmamk_f16 v34, v29, 0xbaee, v15
	v_fmac_f16_e32 v15, 0x3aee, v29
	v_add_f16_e32 v29, v23, v14
	v_add_f16_e32 v14, v33, v25
	v_fmamk_f16 v43, v30, 0x3aee, v24
	v_add_f16_e32 v23, v16, v33
	v_fmac_f16_e32 v24, 0xbaee, v30
	v_add_f16_e32 v30, v17, v19
	v_fmac_f16_e32 v16, -0.5, v14
	v_sub_f16_e32 v14, v17, v19
	v_add_f16_e32 v44, v23, v25
	v_add_f16_e32 v17, v26, v17
	v_fmac_f16_e32 v26, -0.5, v30
	v_sub_f16_e32 v23, v33, v25
	v_fmamk_f16 v25, v14, 0xbaee, v16
	v_fmac_f16_e32 v16, 0x3aee, v14
	v_add_f16_e32 v17, v17, v19
	v_add_f16_e32 v14, v31, v32
	v_fmamk_f16 v19, v23, 0x3aee, v26
	v_fmac_f16_e32 v26, 0xbaee, v23
	v_add_f16_e32 v23, v18, v20
	v_add_f16_e32 v21, v21, v60
	;; [unrolled: 1-line block ×3, first 2 shown]
	v_fmac_f16_e32 v13, -0.5, v14
	v_sub_f16_e32 v33, v18, v20
	v_add_f16_e32 v18, v22, v18
	v_fmac_f16_e32 v22, -0.5, v23
	v_sub_f16_e32 v31, v31, v32
	v_add_f16_e32 v30, v30, v32
	v_fmamk_f16 v14, v33, 0xbaee, v13
	v_add_f16_e32 v18, v18, v20
	v_pack_b32_f16 v20, v21, v29
	v_fmamk_f16 v23, v31, 0x3aee, v22
	v_pack_b32_f16 v21, v34, v43
	v_fmac_f16_e32 v13, 0x3aee, v33
	v_fmac_f16_e32 v22, 0xbaee, v31
	v_pack_b32_f16 v15, v15, v24
	v_pack_b32_f16 v17, v44, v17
	;; [unrolled: 1-line block ×3, first 2 shown]
	v_add_nc_u32_e32 v24, 0x400, v49
	v_pack_b32_f16 v16, v16, v26
	ds_write2_b32 v75, v20, v21 offset1:54
	v_pack_b32_f16 v18, v30, v18
	v_pack_b32_f16 v20, v14, v23
	;; [unrolled: 1-line block ×3, first 2 shown]
	ds_write_b32 v75, v15 offset:432
	ds_write2_b32 v74, v17, v19 offset1:54
	ds_write_b32 v74, v16 offset:432
	ds_write2_b32 v73, v18, v20 offset1:54
	ds_write_b32 v73, v21 offset:432
	s_waitcnt lgkmcnt(0)
	s_barrier
	buffer_gl0_inv
	ds_read2_b32 v[16:17], v49 offset1:162
	ds_read2_b32 v[20:21], v24 offset0:68 offset1:230
	ds_read2_b32 v[18:19], v41 offset0:8 offset1:170
	ds_read_b32 v25, v49 offset:3888
	s_and_saveexec_b32 s1, s0
	s_cbranch_execz .LBB0_19
; %bb.18:
	v_add_nc_u32_e32 v13, 0x100, v49
	v_add_nc_u32_e32 v22, 0xc00, v49
	ds_read2_b32 v[37:38], v42 offset0:66 offset1:228
	ds_read_b32 v79, v49 offset:4392
	ds_read2_b32 v[14:15], v13 offset0:62 offset1:224
	ds_read2_b32 v[39:40], v22 offset0:6 offset1:168
	s_waitcnt lgkmcnt(3)
	v_lshrrev_b32_e32 v45, 16, v37
	v_lshrrev_b32_e32 v76, 16, v38
	s_waitcnt lgkmcnt(2)
	v_lshrrev_b32_e32 v80, 16, v79
	s_waitcnt lgkmcnt(1)
	v_lshrrev_b32_e32 v23, 16, v14
	v_lshrrev_b32_e32 v22, 16, v15
	s_waitcnt lgkmcnt(0)
	v_lshrrev_b32_e32 v77, 16, v39
	v_lshrrev_b32_e32 v78, 16, v40
	v_mov_b32_e32 v13, v15
.LBB0_19:
	s_or_b32 exec_lo, exec_lo, s1
	s_waitcnt lgkmcnt(3)
	v_lshrrev_b32_e32 v15, 16, v17
	s_waitcnt lgkmcnt(2)
	v_lshrrev_b32_e32 v26, 16, v20
	v_lshrrev_b32_e32 v29, 16, v21
	v_mul_f16_sdwa v30, v4, v17 dst_sel:DWORD dst_unused:UNUSED_PAD src0_sel:WORD_1 src1_sel:DWORD
	s_waitcnt lgkmcnt(1)
	v_lshrrev_b32_e32 v31, 16, v18
	v_mul_f16_sdwa v32, v4, v15 dst_sel:DWORD dst_unused:UNUSED_PAD src0_sel:WORD_1 src1_sel:DWORD
	v_lshrrev_b32_e32 v33, 16, v19
	s_waitcnt lgkmcnt(0)
	v_lshrrev_b32_e32 v34, 16, v25
	v_fma_f16 v15, v4, v15, -v30
	v_mul_f16_sdwa v30, v5, v26 dst_sel:DWORD dst_unused:UNUSED_PAD src0_sel:WORD_1 src1_sel:DWORD
	v_fmac_f16_e32 v32, v4, v17
	v_mul_f16_sdwa v4, v5, v20 dst_sel:DWORD dst_unused:UNUSED_PAD src0_sel:WORD_1 src1_sel:DWORD
	v_mul_f16_sdwa v17, v6, v29 dst_sel:DWORD dst_unused:UNUSED_PAD src0_sel:WORD_1 src1_sel:DWORD
	;; [unrolled: 1-line block ×4, first 2 shown]
	v_fmac_f16_e32 v30, v5, v20
	v_fma_f16 v4, v5, v26, -v4
	v_fmac_f16_e32 v17, v6, v21
	v_fma_f16 v5, v6, v29, -v42
	v_fmac_f16_e32 v43, v7, v18
	v_mul_f16_sdwa v6, v36, v34 dst_sel:DWORD dst_unused:UNUSED_PAD src0_sel:WORD_1 src1_sel:DWORD
	v_mul_f16_sdwa v20, v36, v25 dst_sel:DWORD dst_unused:UNUSED_PAD src0_sel:WORD_1 src1_sel:DWORD
	;; [unrolled: 1-line block ×5, first 2 shown]
	v_fmac_f16_e32 v6, v36, v25
	v_fma_f16 v20, v36, v34, -v20
	v_fma_f16 v7, v7, v31, -v18
	v_fmac_f16_e32 v21, v35, v19
	v_fma_f16 v18, v35, v33, -v26
	v_add_f16_e32 v19, v32, v6
	v_add_f16_e32 v25, v15, v20
	v_sub_f16_e32 v15, v15, v20
	v_add_f16_e32 v20, v30, v21
	v_add_f16_e32 v26, v4, v18
	v_sub_f16_e32 v21, v30, v21
	v_sub_f16_e32 v4, v4, v18
	v_add_f16_e32 v18, v17, v43
	v_add_f16_e32 v29, v5, v7
	v_sub_f16_e32 v17, v43, v17
	;; [unrolled: 4-line block ×3, first 2 shown]
	v_sub_f16_e32 v31, v20, v19
	v_sub_f16_e32 v32, v26, v25
	;; [unrolled: 1-line block ×6, first 2 shown]
	v_add_f16_e32 v33, v17, v21
	v_add_f16_e32 v34, v5, v4
	v_sub_f16_e32 v35, v17, v21
	v_sub_f16_e32 v36, v5, v4
	v_add_f16_e32 v7, v18, v7
	v_add_f16_e32 v18, v29, v30
	v_sub_f16_e32 v21, v21, v6
	v_sub_f16_e32 v4, v4, v15
	v_sub_f16_e32 v17, v6, v17
	v_sub_f16_e32 v5, v15, v5
	v_add_f16_e32 v6, v33, v6
	v_add_f16_e32 v15, v34, v15
	;; [unrolled: 1-line block ×3, first 2 shown]
	v_add_f16_sdwa v16, v16, v18 dst_sel:DWORD dst_unused:UNUSED_PAD src0_sel:WORD_1 src1_sel:DWORD
	v_mul_f16_e32 v19, 0x3a52, v19
	v_mul_f16_e32 v25, 0x3a52, v25
	;; [unrolled: 1-line block ×8, first 2 shown]
	v_fmamk_f16 v7, v7, 0xbcab, v29
	v_fmamk_f16 v18, v18, 0xbcab, v16
	;; [unrolled: 1-line block ×4, first 2 shown]
	v_fma_f16 v30, v31, 0x39e0, -v30
	v_fma_f16 v33, v32, 0x39e0, -v33
	;; [unrolled: 1-line block ×4, first 2 shown]
	v_fmamk_f16 v31, v17, 0xb574, v34
	v_fmamk_f16 v32, v5, 0xb574, v35
	v_fma_f16 v21, v21, 0xbb00, -v34
	v_fma_f16 v4, v4, 0xbb00, -v35
	;; [unrolled: 1-line block ×4, first 2 shown]
	v_add_f16_e32 v20, v20, v7
	v_add_f16_e32 v26, v26, v18
	v_fmac_f16_e32 v31, 0xb70e, v6
	v_fmac_f16_e32 v32, 0xb70e, v15
	v_add_f16_e32 v30, v30, v7
	v_add_f16_e32 v33, v33, v18
	;; [unrolled: 1-line block ×4, first 2 shown]
	v_fmac_f16_e32 v21, 0xb70e, v6
	v_fmac_f16_e32 v5, 0xb70e, v15
	;; [unrolled: 1-line block ×4, first 2 shown]
	v_add_f16_e32 v6, v32, v20
	v_sub_f16_e32 v15, v26, v31
	v_add_f16_e32 v19, v5, v7
	v_sub_f16_e32 v25, v18, v17
	v_sub_f16_e32 v34, v30, v4
	v_add_f16_e32 v35, v21, v33
	v_add_f16_e32 v4, v4, v30
	v_sub_f16_e32 v21, v33, v21
	v_sub_f16_e32 v5, v7, v5
	v_add_f16_e32 v7, v17, v18
	v_sub_f16_e32 v17, v20, v32
	v_add_f16_e32 v18, v31, v26
	v_pack_b32_f16 v16, v29, v16
	v_pack_b32_f16 v6, v6, v15
	;; [unrolled: 1-line block ×7, first 2 shown]
	ds_write2_b32 v49, v16, v6 offset1:162
	ds_write2_b32 v24, v15, v19 offset0:68 offset1:230
	ds_write2_b32 v41, v4, v5 offset0:8 offset1:170
	ds_write_b32 v49, v7 offset:3888
	s_and_saveexec_b32 s1, s0
	s_cbranch_execz .LBB0_21
; %bb.20:
	v_mul_f16_sdwa v4, v0, v22 dst_sel:DWORD dst_unused:UNUSED_PAD src0_sel:WORD_1 src1_sel:DWORD
	v_mul_f16_sdwa v7, v1, v45 dst_sel:DWORD dst_unused:UNUSED_PAD src0_sel:WORD_1 src1_sel:DWORD
	;; [unrolled: 1-line block ×5, first 2 shown]
	v_fmac_f16_e32 v4, v0, v13
	v_mul_f16_sdwa v13, v0, v13 dst_sel:DWORD dst_unused:UNUSED_PAD src0_sel:WORD_1 src1_sel:DWORD
	v_mul_f16_sdwa v5, v3, v77 dst_sel:DWORD dst_unused:UNUSED_PAD src0_sel:WORD_1 src1_sel:DWORD
	;; [unrolled: 1-line block ×3, first 2 shown]
	v_fmac_f16_e32 v7, v1, v37
	v_fma_f16 v19, v28, v80, -v19
	v_fma_f16 v0, v0, v22, -v13
	v_mul_f16_sdwa v13, v2, v38 dst_sel:DWORD dst_unused:UNUSED_PAD src0_sel:WORD_1 src1_sel:DWORD
	v_mul_f16_sdwa v22, v3, v39 dst_sel:DWORD dst_unused:UNUSED_PAD src0_sel:WORD_1 src1_sel:DWORD
	v_fma_f16 v25, v27, v78, -v25
	v_fma_f16 v1, v1, v45, -v26
	v_mul_f16_sdwa v15, v27, v78 dst_sel:DWORD dst_unused:UNUSED_PAD src0_sel:WORD_1 src1_sel:DWORD
	v_mul_f16_sdwa v16, v28, v80 dst_sel:DWORD dst_unused:UNUSED_PAD src0_sel:WORD_1 src1_sel:DWORD
	v_fmac_f16_e32 v5, v3, v39
	v_fmac_f16_e32 v6, v2, v38
	v_add_f16_e32 v26, v19, v0
	v_fma_f16 v2, v2, v76, -v13
	v_fma_f16 v3, v3, v77, -v22
	v_add_f16_e32 v13, v25, v1
	v_fmac_f16_e32 v15, v27, v40
	v_fmac_f16_e32 v16, v28, v79
	v_sub_f16_e32 v17, v5, v6
	v_add_f16_e32 v27, v2, v3
	v_add_f16_e32 v28, v13, v26
	v_sub_f16_e32 v18, v7, v15
	v_sub_f16_e32 v20, v4, v16
	v_add_f16_e32 v4, v16, v4
	v_add_f16_e32 v7, v15, v7
	;; [unrolled: 1-line block ×3, first 2 shown]
	v_sub_f16_e32 v29, v26, v27
	v_add_f16_e32 v5, v6, v5
	v_sub_f16_e32 v2, v3, v2
	v_sub_f16_e32 v1, v1, v25
	v_add_f16_e32 v6, v23, v28
	v_add_f16_e32 v23, v7, v4
	v_mul_f16_e32 v16, 0x3a52, v29
	v_sub_f16_e32 v29, v4, v5
	v_sub_f16_e32 v0, v0, v19
	;; [unrolled: 1-line block ×3, first 2 shown]
	v_add_f16_e32 v23, v5, v23
	v_sub_f16_e32 v15, v27, v13
	v_mul_f16_e32 v3, 0x3a52, v29
	v_sub_f16_e32 v5, v5, v7
	v_sub_f16_e32 v19, v2, v1
	v_add_f16_e32 v14, v14, v23
	v_sub_f16_e32 v24, v20, v17
	v_add_f16_e32 v17, v17, v18
	v_sub_f16_e32 v29, v0, v2
	v_sub_f16_e32 v18, v18, v20
	v_add_f16_e32 v2, v2, v1
	v_sub_f16_e32 v13, v13, v26
	v_sub_f16_e32 v1, v1, v0
	v_mul_f16_e32 v21, 0x3846, v21
	v_mul_f16_e32 v27, 0x2b26, v15
	v_fmamk_f16 v25, v5, 0x2b26, v3
	v_fmamk_f16 v23, v23, 0xbcab, v14
	v_mul_f16_e32 v19, 0x3846, v19
	v_fmamk_f16 v15, v15, 0x2b26, v16
	v_mul_f16_e32 v5, 0x2b26, v5
	v_mul_f16_e32 v31, 0xbb00, v18
	v_sub_f16_e32 v4, v7, v4
	v_fma_f16 v7, v13, 0xb9e0, -v16
	v_mul_f16_e32 v16, 0xbb00, v1
	v_fmamk_f16 v22, v24, 0xb574, v21
	v_add_f16_e32 v17, v17, v20
	v_fmamk_f16 v28, v28, 0xbcab, v6
	v_add_f16_e32 v20, v25, v23
	;; [unrolled: 2-line block ×3, first 2 shown]
	v_fma_f16 v13, v13, 0x39e0, -v27
	v_fma_f16 v18, v18, 0xbb00, -v21
	;; [unrolled: 1-line block ×7, first 2 shown]
	v_fmac_f16_e32 v22, 0xb70e, v17
	v_add_f16_e32 v15, v15, v28
	v_fmac_f16_e32 v25, 0xb70e, v0
	v_add_f16_e32 v5, v13, v28
	v_fmac_f16_e32 v18, 0xb70e, v17
	v_fmac_f16_e32 v2, 0xb70e, v17
	v_add_f16_e32 v7, v7, v28
	v_add_f16_e32 v3, v3, v23
	v_fmac_f16_e32 v16, 0xb70e, v0
	v_fmac_f16_e32 v1, 0xb70e, v0
	v_add_f16_e32 v0, v4, v23
	v_add_f16_e32 v30, v22, v15
	v_sub_f16_e32 v19, v5, v18
	v_add_f16_e32 v5, v18, v5
	v_sub_f16_e32 v15, v15, v22
	v_add_f16_e32 v18, v25, v20
	v_add_f16_e32 v13, v2, v7
	v_sub_f16_e32 v17, v3, v16
	v_add_f16_e32 v21, v1, v0
	v_sub_f16_e32 v2, v7, v2
	;; [unrolled: 2-line block ×3, first 2 shown]
	v_sub_f16_e32 v4, v20, v25
	v_pack_b32_f16 v1, v14, v6
	v_pack_b32_f16 v6, v18, v15
	v_add_nc_u32_e32 v7, 0x100, v49
	v_pack_b32_f16 v2, v3, v2
	v_pack_b32_f16 v0, v0, v5
	v_add_nc_u32_e32 v3, 0x600, v49
	;; [unrolled: 3-line block ×3, first 2 shown]
	v_pack_b32_f16 v4, v4, v30
	ds_write2_b32 v7, v1, v6 offset0:62 offset1:224
	ds_write2_b32 v3, v2, v0 offset0:66 offset1:228
	;; [unrolled: 1-line block ×3, first 2 shown]
	ds_write_b32 v49, v4 offset:4392
.LBB0_21:
	s_or_b32 exec_lo, exec_lo, s1
	s_waitcnt lgkmcnt(0)
	s_barrier
	buffer_gl0_inv
	ds_read2_b32 v[0:1], v49 offset1:126
	v_add_nc_u32_e32 v2, 0x800, v49
	v_mad_u64_u32 v[13:14], null, s10, v10, 0
	s_mov_b32 s12, 0x8eac7900
	s_mov_b32 s13, 0x3f4ce55c
	ds_read2_b32 v[2:3], v2 offset0:55 offset1:181
	s_waitcnt lgkmcnt(1)
	v_lshrrev_b32_e32 v4, 16, v0
	v_mul_f16_sdwa v5, v58, v0 dst_sel:DWORD dst_unused:UNUSED_PAD src0_sel:WORD_1 src1_sel:DWORD
	v_mul_f16_sdwa v6, v58, v4 dst_sel:DWORD dst_unused:UNUSED_PAD src0_sel:WORD_1 src1_sel:DWORD
	v_fma_f16 v4, v58, v4, -v5
	s_waitcnt lgkmcnt(0)
	v_lshrrev_b32_e32 v15, 16, v2
	v_mul_f16_sdwa v7, v57, v2 dst_sel:DWORD dst_unused:UNUSED_PAD src0_sel:WORD_1 src1_sel:DWORD
	v_fmac_f16_e32 v6, v58, v0
	v_cvt_f32_f16_e32 v0, v4
	v_mul_f16_sdwa v19, v57, v15 dst_sel:DWORD dst_unused:UNUSED_PAD src0_sel:WORD_1 src1_sel:DWORD
	v_cvt_f32_f16_e32 v6, v6
	v_cvt_f64_f32_e32 v[4:5], v0
	v_fma_f16 v0, v57, v15, -v7
	v_mad_u64_u32 v[15:16], null, s8, v55, 0
	v_cvt_f64_f32_e32 v[6:7], v6
	v_fmac_f16_e32 v19, v57, v2
	v_cvt_f32_f16_e32 v0, v0
	v_mov_b32_e32 v2, v16
	v_cvt_f64_f32_e32 v[17:18], v0
	v_mov_b32_e32 v0, v14
	v_cvt_f32_f16_e32 v14, v19
	v_mad_u64_u32 v[22:23], null, s9, v55, v[2:3]
	v_mad_u64_u32 v[19:20], null, s11, v10, v[0:1]
	v_lshrrev_b32_e32 v10, 16, v1
	v_cvt_f64_f32_e32 v[20:21], v14
	v_mul_f64 v[4:5], v[4:5], s[12:13]
	v_mov_b32_e32 v16, v22
	v_mul_f16_sdwa v2, v56, v10 dst_sel:DWORD dst_unused:UNUSED_PAD src0_sel:WORD_1 src1_sel:DWORD
	v_mov_b32_e32 v14, v19
	v_mul_f64 v[6:7], v[6:7], s[12:13]
	v_mul_f16_sdwa v19, v56, v1 dst_sel:DWORD dst_unused:UNUSED_PAD src0_sel:WORD_1 src1_sel:DWORD
	v_fmac_f16_e32 v2, v56, v1
	v_lshlrev_b64 v[0:1], 2, v[13:14]
	v_fma_f16 v10, v56, v10, -v19
	v_mul_f64 v[13:14], v[17:18], s[12:13]
	v_cvt_f32_f16_e32 v2, v2
	v_add_co_u32 v19, s0, s6, v0
	v_add_co_ci_u32_e64 v22, s0, s7, v1, s0
	v_cvt_f64_f32_e32 v[0:1], v2
	v_mul_f64 v[17:18], v[20:21], s[12:13]
	v_and_or_b32 v2, 0x1ff, v5, v4
	v_lshrrev_b32_e32 v4, 8, v5
	v_bfe_u32 v20, v5, 20, 11
	v_lshrrev_b32_e32 v5, 16, v5
	v_and_or_b32 v6, 0x1ff, v7, v6
	v_cmp_ne_u32_e64 s0, 0, v2
	v_lshrrev_b32_e32 v21, 8, v7
	v_bfe_u32 v23, v7, 20, 11
	v_sub_nc_u32_e32 v24, 0x3f1, v20
	v_add_nc_u32_e32 v20, 0xfffffc10, v20
	v_cndmask_b32_e64 v2, 0, 1, s0
	v_and_or_b32 v13, 0x1ff, v14, v13
	v_cmp_ne_u32_e64 s0, 0, v6
	v_bfe_u32 v26, v14, 20, 11
	v_lshrrev_b32_e32 v25, 8, v14
	v_sub_nc_u32_e32 v27, 0x3f1, v23
	v_and_or_b32 v2, 0xffe, v4, v2
	v_cndmask_b32_e64 v6, 0, 1, s0
	v_cmp_ne_u32_e64 s0, 0, v13
	v_sub_nc_u32_e32 v29, 0x3f1, v26
	v_and_or_b32 v17, 0x1ff, v18, v17
	v_med3_i32 v4, v24, 0, 13
	v_and_or_b32 v6, 0xffe, v21, v6
	v_cndmask_b32_e64 v13, 0, 1, s0
	v_med3_i32 v21, v27, 0, 13
	v_cmp_ne_u32_e64 s0, 0, v2
	v_or_b32_e32 v27, 0x1000, v2
	v_lshl_or_b32 v30, v20, 12, v2
	v_and_or_b32 v13, 0xffe, v25, v13
	v_med3_i32 v25, v29, 0, 13
	v_or_b32_e32 v29, 0x1000, v6
	v_cndmask_b32_e64 v2, 0, 1, s0
	v_cmp_ne_u32_e64 s0, 0, v17
	v_add_nc_u32_e32 v23, 0xfffffc10, v23
	v_lshrrev_b32_e32 v33, v4, v27
	v_lshrrev_b32_e32 v34, v21, v29
	;; [unrolled: 1-line block ×3, first 2 shown]
	v_cndmask_b32_e64 v17, 0, 1, s0
	v_cmp_ne_u32_e64 s0, 0, v6
	v_bfe_u32 v28, v18, 20, 11
	v_lshlrev_b32_e32 v21, v21, v34
	v_lshl_or_b32 v32, v23, 12, v6
	v_lshlrev_b32_e32 v4, v4, v33
	v_cndmask_b32_e64 v6, 0, 1, s0
	v_sub_nc_u32_e32 v31, 0x3f1, v28
	v_cmp_ne_u32_e64 s0, v21, v29
	v_and_or_b32 v17, 0xffe, v24, v17
	v_add_nc_u32_e32 v28, 0xfffffc10, v28
	v_lshl_or_b32 v6, v6, 9, 0x7c00
	v_med3_i32 v24, v31, 0, 13
	v_cndmask_b32_e64 v21, 0, 1, s0
	v_cmp_ne_u32_e64 s0, v4, v27
	v_or_b32_e32 v36, 0x1000, v17
	v_or_b32_e32 v31, 0x1000, v13
	v_lshl_or_b32 v29, v28, 12, v17
	v_or_b32_e32 v21, v34, v21
	v_cndmask_b32_e64 v4, 0, 1, s0
	v_cmp_gt_i32_e64 s0, 1, v23
	v_lshrrev_b32_e32 v27, v24, v36
	v_lshrrev_b32_e32 v34, v25, v31
	v_cmp_gt_i32_e64 s4, 1, v28
	v_or_b32_e32 v4, v33, v4
	v_cndmask_b32_e64 v21, v32, v21, s0
	v_cmp_gt_i32_e64 s0, 1, v20
	v_lshlrev_b32_e32 v24, v24, v27
	v_lshlrev_b32_e32 v25, v25, v34
	v_lshl_or_b32 v2, v2, 9, 0x7c00
	v_lshrrev_b32_e32 v7, 16, v7
	v_cndmask_b32_e64 v4, v30, v4, s0
	v_cmp_ne_u32_e64 s0, v24, v36
	v_and_b32_e32 v30, 7, v21
	v_lshrrev_b32_e32 v21, 2, v21
	v_add_nc_u32_e32 v26, 0xfffffc10, v26
	v_and_b32_e32 v32, 7, v4
	v_cndmask_b32_e64 v24, 0, 1, s0
	v_cmp_lt_i32_e64 s0, 5, v30
	v_cmp_eq_u32_e64 s1, 3, v30
	v_lshrrev_b32_e32 v4, 2, v4
	v_cmp_lt_i32_e64 s2, 5, v32
	v_cmp_eq_u32_e64 s3, 3, v32
	v_or_b32_e32 v24, v27, v24
	s_or_b32 s0, s1, s0
	v_lshl_or_b32 v35, v26, 12, v13
	v_add_co_ci_u32_e64 v21, s0, 0, v21, s0
	s_or_b32 s0, s3, s2
	v_cndmask_b32_e64 v24, v29, v24, s4
	v_add_co_ci_u32_e64 v4, s0, 0, v4, s0
	v_cmp_gt_i32_e64 s0, 31, v23
	v_mul_f64 v[0:1], v[0:1], s[12:13]
	v_and_b32_e32 v27, 7, v24
	v_cmp_eq_u32_e64 s2, 0x40f, v28
	v_lshrrev_b32_e32 v14, 16, v14
	v_cndmask_b32_e64 v21, 0x7c00, v21, s0
	v_cmp_gt_i32_e64 s0, 31, v20
	v_cmp_eq_u32_e64 s1, 3, v27
	v_cndmask_b32_e64 v4, 0x7c00, v4, s0
	v_cmp_eq_u32_e64 s0, 0x40f, v23
	v_cndmask_b32_e64 v6, v21, v6, s0
	v_cmp_ne_u32_e64 s0, v25, v31
	v_cndmask_b32_e64 v21, 0, 1, s0
	v_cmp_eq_u32_e64 s0, 0x40f, v20
	v_and_or_b32 v0, 0x1ff, v1, v0
	v_cndmask_b32_e64 v2, v4, v2, s0
	v_cmp_lt_i32_e64 s0, 5, v27
	v_and_or_b32 v4, 0x8000, v7, v6
	v_lshrrev_b32_e32 v6, 2, v24
	v_and_or_b32 v2, 0x8000, v5, v2
	s_or_b32 s0, s1, s0
	v_and_b32_e32 v4, 0xffff, v4
	v_add_co_ci_u32_e64 v20, s0, 0, v6, s0
	v_cmp_ne_u32_e64 s0, 0, v17
	v_or_b32_e32 v5, v34, v21
	v_lshl_or_b32 v2, v2, 16, v4
	v_cvt_f32_f16_e32 v4, v10
	v_lshlrev_b64 v[6:7], 2, v[15:16]
	v_cndmask_b32_e64 v10, 0, 1, s0
	v_cmp_gt_i32_e64 s0, 1, v26
	v_lshl_or_b32 v10, v10, 9, 0x7c00
	v_cndmask_b32_e64 v17, v35, v5, s0
	v_cvt_f64_f32_e32 v[4:5], v4
	v_cmp_gt_i32_e64 s0, 31, v28
	v_and_b32_e32 v16, 7, v17
	v_cndmask_b32_e64 v15, 0x7c00, v20, s0
	v_add_co_u32 v6, s0, v19, v6
	v_add_co_ci_u32_e64 v7, s0, v22, v7, s0
	v_cmp_lt_i32_e64 s0, 5, v16
	v_cmp_eq_u32_e64 s1, 3, v16
	v_cndmask_b32_e64 v10, v15, v10, s2
	v_lshrrev_b32_e32 v15, 2, v17
	v_lshrrev_b32_e32 v16, 16, v18
	;; [unrolled: 1-line block ×3, first 2 shown]
	s_or_b32 s0, s1, s0
	v_bfe_u32 v18, v1, 20, 11
	v_add_co_ci_u32_e64 v15, s0, 0, v15, s0
	v_cmp_ne_u32_e64 s0, 0, v13
	v_mul_f64 v[4:5], v[4:5], s[12:13]
	v_and_or_b32 v10, 0x8000, v16, v10
	v_sub_nc_u32_e32 v16, 0x3f1, v18
	s_mul_hi_u32 s1, s8, 0x237
	v_cndmask_b32_e64 v13, 0, 1, s0
	v_cmp_ne_u32_e64 s0, 0, v0
	v_lshrrev_b32_e32 v19, 16, v3
	v_med3_i32 v16, v16, 0, 13
	v_add_nc_u32_e32 v18, 0xfffffc10, v18
	v_lshl_or_b32 v13, v13, 9, 0x7c00
	v_cndmask_b32_e64 v0, 0, 1, s0
	v_cmp_gt_i32_e64 s0, 31, v26
	v_and_b32_e32 v10, 0xffff, v10
	s_mul_i32 s2, s8, 0x237
	global_store_dword v[6:7], v2, off
	v_and_or_b32 v0, 0xffe, v17, v0
	v_cndmask_b32_e64 v15, 0x7c00, v15, s0
	v_cmp_eq_u32_e64 s0, 0x40f, v26
	v_lshl_or_b32 v22, v18, 12, v0
	v_cndmask_b32_e64 v13, v15, v13, s0
	v_or_b32_e32 v15, 0x1000, v0
	v_and_or_b32 v4, 0x1ff, v5, v4
	s_mul_i32 s0, s9, 0x237
	v_lshrrev_b32_e32 v20, 8, v5
	v_and_or_b32 v17, 0x8000, v14, v13
	v_lshrrev_b32_e32 v13, v16, v15
	s_add_i32 s3, s1, s0
	v_cmp_ne_u32_e64 s0, 0, v4
	v_bfe_u32 v21, v5, 20, 11
	v_lshl_or_b32 v10, v17, 16, v10
	v_lshlrev_b32_e32 v14, v16, v13
	v_mul_f16_sdwa v16, v54, v19 dst_sel:DWORD dst_unused:UNUSED_PAD src0_sel:WORD_1 src1_sel:DWORD
	v_cndmask_b32_e64 v4, 0, 1, s0
	s_lshl_b64 s[10:11], s[2:3], 2
	v_lshrrev_b32_e32 v5, 16, v5
	v_cmp_ne_u32_e64 s0, v14, v15
	v_fmac_f16_e32 v16, v54, v3
	v_and_or_b32 v4, 0xffe, v20, v4
	v_mul_f16_sdwa v3, v54, v3 dst_sel:DWORD dst_unused:UNUSED_PAD src0_sel:WORD_1 src1_sel:DWORD
	v_cndmask_b32_e64 v14, 0, 1, s0
	v_cvt_f32_f16_e32 v15, v16
	v_sub_nc_u32_e32 v16, 0x3f1, v21
	v_cmp_gt_i32_e64 s0, 1, v18
	v_or_b32_e32 v23, 0x1000, v4
	v_or_b32_e32 v20, v13, v14
	v_cvt_f64_f32_e32 v[13:14], v15
	v_med3_i32 v24, v16, 0, 13
	v_fma_f16 v3, v54, v19, -v3
	v_add_nc_u32_e32 v19, 0x200, v49
	v_cndmask_b32_e64 v17, v22, v20, s0
	v_add_co_u32 v15, s0, v6, s10
	v_lshrrev_b32_e32 v20, v24, v23
	v_add_co_ci_u32_e64 v16, s0, s11, v7, s0
	v_and_b32_e32 v22, 7, v17
	v_lshlrev_b32_e32 v2, v24, v20
	global_store_dword v[15:16], v10, off
	v_lshrrev_b32_e32 v10, 2, v17
	v_cmp_lt_i32_e64 s0, 5, v22
	v_cmp_eq_u32_e64 s1, 3, v22
	v_cmp_ne_u32_e64 s2, v2, v23
	v_add_nc_u32_e32 v17, 0xfffffc10, v21
	s_or_b32 s0, s1, s0
	v_cndmask_b32_e64 v2, 0, 1, s2
	v_add_co_ci_u32_e64 v10, s0, 0, v10, s0
	v_cmp_ne_u32_e64 s0, 0, v0
	v_mul_f64 v[6:7], v[13:14], s[12:13]
	v_or_b32_e32 v2, v20, v2
	v_lshl_or_b32 v13, v17, 12, v4
	v_cndmask_b32_e64 v0, 0, 1, s0
	v_cmp_gt_i32_e64 s0, 1, v17
	v_lshl_or_b32 v0, v0, 9, 0x7c00
	v_cndmask_b32_e64 v13, v13, v2, s0
	v_cvt_f32_f16_e32 v2, v3
	v_cmp_gt_i32_e64 s0, 31, v18
	v_and_b32_e32 v14, 7, v13
	v_cvt_f64_f32_e32 v[2:3], v2
	v_cndmask_b32_e64 v10, 0x7c00, v10, s0
	v_cmp_eq_u32_e64 s0, 0x40f, v18
	v_lshrrev_b32_e32 v18, 16, v1
	v_cmp_eq_u32_e64 s1, 3, v14
	v_lshrrev_b32_e32 v13, 2, v13
	v_and_or_b32 v6, 0x1ff, v7, v6
	v_cndmask_b32_e64 v10, v10, v0, s0
	ds_read2_b32 v[0:1], v19 offset0:124 offset1:250
	v_cmp_lt_i32_e64 s0, 5, v14
	v_lshrrev_b32_e32 v14, 8, v7
	v_cmp_ne_u32_e64 s2, 0, v6
	v_bfe_u32 v19, v7, 20, 11
	v_and_or_b32 v10, 0x8000, v18, v10
	s_or_b32 s0, s1, s0
	s_mul_hi_u32 s1, s8, 0xfffffe47
	v_cndmask_b32_e64 v6, 0, 1, s2
	v_add_co_ci_u32_e64 v13, s0, 0, v13, s0
	v_cmp_ne_u32_e64 s0, 0, v4
	s_sub_i32 s1, s1, s8
	v_and_or_b32 v6, 0xffe, v14, v6
	v_mul_f64 v[2:3], v[2:3], s[12:13]
	v_sub_nc_u32_e32 v14, 0x3f1, v19
	v_cndmask_b32_e64 v4, 0, 1, s0
	v_cmp_gt_i32_e64 s0, 31, v17
	v_or_b32_e32 v20, 0x1000, v6
	v_add_nc_u32_e32 v19, 0xfffffc10, v19
	v_med3_i32 v14, v14, 0, 13
	v_lshl_or_b32 v4, v4, 9, 0x7c00
	v_cndmask_b32_e64 v13, 0x7c00, v13, s0
	s_waitcnt lgkmcnt(0)
	v_lshrrev_b32_e32 v21, 16, v0
	v_cmp_eq_u32_e64 s0, 0x40f, v17
	v_lshrrev_b32_e32 v17, v14, v20
	v_and_b32_e32 v10, 0xffff, v10
	s_mul_i32 s2, s8, 0xfffffe47
	v_cndmask_b32_e64 v4, v13, v4, s0
	v_mul_f16_sdwa v13, v53, v21 dst_sel:DWORD dst_unused:UNUSED_PAD src0_sel:WORD_1 src1_sel:DWORD
	v_lshlrev_b32_e32 v14, v14, v17
	s_mul_i32 s0, s9, 0xfffffe47
	s_add_i32 s3, s1, s0
	v_fmac_f16_e32 v13, v53, v0
	v_cmp_ne_u32_e64 s0, v14, v20
	v_and_or_b32 v2, 0x1ff, v3, v2
	v_and_or_b32 v18, 0x8000, v5, v4
	v_lshl_or_b32 v14, v19, 12, v6
	v_cvt_f32_f16_e32 v4, v13
	v_cndmask_b32_e64 v13, 0, 1, s0
	v_cmp_ne_u32_e64 s0, 0, v2
	v_bfe_u32 v20, v3, 20, 11
	v_lshl_or_b32 v10, v18, 16, v10
	v_cvt_f64_f32_e32 v[4:5], v4
	v_or_b32_e32 v13, v17, v13
	v_cndmask_b32_e64 v2, 0, 1, s0
	v_lshrrev_b32_e32 v17, 8, v3
	v_cmp_gt_i32_e64 s0, 1, v19
	s_lshl_b64 s[8:9], s[2:3], 2
	v_mul_f16_sdwa v0, v53, v0 dst_sel:DWORD dst_unused:UNUSED_PAD src0_sel:WORD_1 src1_sel:DWORD
	v_lshrrev_b32_e32 v3, 16, v3
	v_and_or_b32 v2, 0xffe, v17, v2
	v_cndmask_b32_e64 v22, v14, v13, s0
	v_sub_nc_u32_e32 v13, 0x3f1, v20
	v_fma_f16 v0, v53, v21, -v0
	v_add_nc_u32_e32 v20, 0xfffffc10, v20
	v_or_b32_e32 v18, 0x1000, v2
	v_and_b32_e32 v17, 7, v22
	v_med3_i32 v23, v13, 0, 13
	v_add_co_u32 v13, s0, v15, s8
	v_add_co_ci_u32_e64 v14, s0, s9, v16, s0
	v_lshrrev_b32_e32 v24, v23, v18
	v_cmp_lt_i32_e64 s0, 5, v17
	v_cmp_eq_u32_e64 s1, 3, v17
	v_mul_f64 v[4:5], v[4:5], s[12:13]
	global_store_dword v[13:14], v10, off
	v_lshrrev_b32_e32 v10, 2, v22
	v_lshlrev_b32_e32 v15, v23, v24
	s_or_b32 s0, s1, s0
	v_cvt_f32_f16_e32 v0, v0
	v_add_co_u32 v13, s2, v13, s10
	v_add_co_ci_u32_e64 v10, s0, 0, v10, s0
	v_cmp_ne_u32_e64 s0, v15, v18
	v_add_nc_u32_e32 v15, 0xc00, v49
	v_cvt_f64_f32_e32 v[17:18], v0
	v_add_co_ci_u32_e64 v14, s2, s11, v14, s2
	v_cndmask_b32_e64 v21, 0, 1, s0
	v_cmp_ne_u32_e64 s0, 0, v6
	ds_read2_b32 v[15:16], v15 offset0:51 offset1:177
	v_or_b32_e32 v0, v24, v21
	v_cndmask_b32_e64 v6, 0, 1, s0
	v_cmp_gt_i32_e64 s0, 31, v19
	v_lshl_or_b32 v21, v20, 12, v2
	v_and_or_b32 v4, 0x1ff, v5, v4
	v_bfe_u32 v22, v5, 20, 11
	v_lshl_or_b32 v6, v6, 9, 0x7c00
	v_cndmask_b32_e64 v10, 0x7c00, v10, s0
	v_cmp_gt_i32_e64 s0, 1, v20
	v_sub_nc_u32_e32 v23, 0x3f1, v22
	v_add_nc_u32_e32 v22, 0xfffffc10, v22
	v_cndmask_b32_e64 v0, v21, v0, s0
	v_cmp_ne_u32_e64 s0, 0, v4
	v_lshrrev_b32_e32 v21, 8, v5
	v_lshrrev_b32_e32 v5, 16, v5
	s_waitcnt lgkmcnt(0)
	v_lshrrev_b32_e32 v24, 16, v15
	v_cndmask_b32_e64 v4, 0, 1, s0
	v_cmp_eq_u32_e64 s0, 0x40f, v19
	v_and_b32_e32 v19, 7, v0
	v_lshrrev_b32_e32 v0, 2, v0
	v_and_or_b32 v4, 0xffe, v21, v4
	v_cndmask_b32_e64 v10, v10, v6, s0
	v_cmp_lt_i32_e64 s0, 5, v19
	v_cmp_eq_u32_e64 s1, 3, v19
	v_lshrrev_b32_e32 v21, 16, v7
	v_mul_f64 v[6:7], v[17:18], s[12:13]
	v_or_b32_e32 v25, 0x1000, v4
	v_med3_i32 v17, v23, 0, 13
	v_mul_f16_sdwa v18, v52, v24 dst_sel:DWORD dst_unused:UNUSED_PAD src0_sel:WORD_1 src1_sel:DWORD
	s_or_b32 s0, s1, s0
	v_and_or_b32 v10, 0x8000, v21, v10
	v_add_co_ci_u32_e64 v0, s0, 0, v0, s0
	v_lshrrev_b32_e32 v19, v17, v25
	v_cmp_ne_u32_e64 s0, 0, v2
	v_fmac_f16_e32 v18, v52, v15
	v_and_b32_e32 v10, 0xffff, v10
	v_mul_f16_sdwa v15, v52, v15 dst_sel:DWORD dst_unused:UNUSED_PAD src0_sel:WORD_1 src1_sel:DWORD
	v_lshlrev_b32_e32 v21, v17, v19
	v_cndmask_b32_e64 v2, 0, 1, s0
	v_cmp_gt_i32_e64 s0, 31, v20
	v_cvt_f32_f16_e32 v18, v18
	v_fma_f16 v15, v52, v24, -v15
	v_lshl_or_b32 v2, v2, 9, 0x7c00
	v_cndmask_b32_e64 v0, 0x7c00, v0, s0
	v_cmp_ne_u32_e64 s0, v21, v25
	v_cvt_f64_f32_e32 v[17:18], v18
	v_and_or_b32 v6, 0x1ff, v7, v6
	v_cvt_f32_f16_e32 v15, v15
	v_cndmask_b32_e64 v21, 0, 1, s0
	v_cmp_eq_u32_e64 s0, 0x40f, v20
	v_lshrrev_b32_e32 v20, 8, v7
	v_cndmask_b32_e64 v0, v0, v2, s0
	v_cmp_ne_u32_e64 s0, 0, v6
	v_or_b32_e32 v2, v19, v21
	v_bfe_u32 v21, v7, 20, 11
	v_lshl_or_b32 v19, v22, 12, v4
	v_and_or_b32 v0, 0x8000, v3, v0
	v_cndmask_b32_e64 v6, 0, 1, s0
	v_cmp_gt_i32_e64 s0, 1, v22
	v_lshrrev_b32_e32 v7, 16, v7
	v_lshl_or_b32 v10, v0, 16, v10
	v_and_or_b32 v6, 0xffe, v20, v6
	v_sub_nc_u32_e32 v20, 0x3f1, v21
	v_cndmask_b32_e64 v19, v19, v2, s0
	v_mul_f64 v[2:3], v[17:18], s[12:13]
	v_or_b32_e32 v25, 0x1000, v6
	v_med3_i32 v17, v20, 0, 13
	v_and_b32_e32 v23, 7, v19
	v_lshrrev_b32_e32 v18, 2, v19
	v_lshrrev_b32_e32 v0, v17, v25
	v_cmp_lt_i32_e64 s0, 5, v23
	v_cmp_eq_u32_e64 s1, 3, v23
	v_lshlrev_b32_e32 v17, v17, v0
	s_or_b32 s0, s1, s0
	v_add_co_ci_u32_e64 v19, s0, 0, v18, s0
	v_cmp_ne_u32_e64 s0, v17, v25
	v_cvt_f64_f32_e32 v[17:18], v15
	v_add_nc_u32_e32 v15, 0xfffffc10, v21
	v_and_or_b32 v2, 0x1ff, v3, v2
	v_lshrrev_b32_e32 v21, 8, v3
	v_cndmask_b32_e64 v20, 0, 1, s0
	v_cmp_gt_i32_e64 s0, 31, v22
	v_bfe_u32 v23, v3, 20, 11
	v_or_b32_e32 v0, v0, v20
	v_cndmask_b32_e64 v19, 0x7c00, v19, s0
	v_cmp_ne_u32_e64 s0, 0, v2
	v_lshl_or_b32 v20, v15, 12, v6
	v_cndmask_b32_e64 v2, 0, 1, s0
	v_cmp_ne_u32_e64 s0, 0, v4
	v_and_or_b32 v2, 0xffe, v21, v2
	v_cndmask_b32_e64 v4, 0, 1, s0
	v_cmp_gt_i32_e64 s0, 1, v15
	v_lshrrev_b32_e32 v21, 16, v1
	v_mul_f64 v[17:18], v[17:18], s[12:13]
	v_or_b32_e32 v25, 0x1000, v2
	v_lshl_or_b32 v4, v4, 9, 0x7c00
	v_cndmask_b32_e64 v0, v20, v0, s0
	v_sub_nc_u32_e32 v20, 0x3f1, v23
	v_cmp_eq_u32_e64 s0, 0x40f, v22
	v_mul_f16_sdwa v26, v51, v21 dst_sel:DWORD dst_unused:UNUSED_PAD src0_sel:WORD_1 src1_sel:DWORD
	v_add_nc_u32_e32 v23, 0xfffffc10, v23
	v_and_b32_e32 v24, 7, v0
	v_med3_i32 v20, v20, 0, 13
	v_cndmask_b32_e64 v4, v19, v4, s0
	v_lshrrev_b32_e32 v0, 2, v0
	v_fmac_f16_e32 v26, v51, v1
	v_cmp_lt_i32_e64 s0, 5, v24
	v_lshrrev_b32_e32 v19, v20, v25
	v_cmp_eq_u32_e64 s1, 3, v24
	v_and_or_b32 v22, 0x8000, v5, v4
	v_cvt_f32_f16_e32 v5, v26
	v_mul_f16_sdwa v1, v51, v1 dst_sel:DWORD dst_unused:UNUSED_PAD src0_sel:WORD_1 src1_sel:DWORD
	v_lshlrev_b32_e32 v4, v20, v19
	s_or_b32 s0, s1, s0
	v_add_co_ci_u32_e64 v0, s0, 0, v0, s0
	v_cmp_ne_u32_e64 s0, v4, v25
	v_cvt_f64_f32_e32 v[4:5], v5
	v_and_or_b32 v17, 0x1ff, v18, v17
	v_bfe_u32 v24, v18, 20, 11
	v_fma_f16 v1, v51, v21, -v1
	v_cndmask_b32_e64 v20, 0, 1, s0
	v_cmp_ne_u32_e64 s0, 0, v6
	v_or_b32_e32 v19, v19, v20
	v_cndmask_b32_e64 v6, 0, 1, s0
	v_cmp_gt_i32_e64 s0, 31, v15
	v_lshl_or_b32 v20, v23, 12, v2
	v_lshl_or_b32 v6, v6, 9, 0x7c00
	v_cndmask_b32_e64 v0, 0x7c00, v0, s0
	v_cmp_gt_i32_e64 s0, 1, v23
	v_cndmask_b32_e64 v19, v20, v19, s0
	v_cmp_ne_u32_e64 s0, 0, v17
	v_lshrrev_b32_e32 v20, 8, v18
	v_mul_f64 v[4:5], v[4:5], s[12:13]
	v_lshrrev_b32_e32 v18, 16, v18
	v_and_b32_e32 v25, 7, v19
	v_cndmask_b32_e64 v17, 0, 1, s0
	v_cmp_eq_u32_e64 s0, 0x40f, v15
	v_cmp_eq_u32_e64 s1, 3, v25
	v_and_or_b32 v15, 0xffe, v20, v17
	v_cndmask_b32_e64 v0, v0, v6, s0
	v_sub_nc_u32_e32 v6, 0x3f1, v24
	v_cmp_lt_i32_e64 s0, 5, v25
	v_or_b32_e32 v17, 0x1000, v15
	v_and_or_b32 v0, 0x8000, v7, v0
	v_lshrrev_b32_e32 v7, 2, v19
	v_med3_i32 v6, v6, 0, 13
	s_or_b32 s0, s1, s0
	v_and_b32_e32 v19, 0xffff, v22
	v_lshrrev_b32_e32 v22, 16, v3
	v_add_co_ci_u32_e64 v7, s0, 0, v7, s0
	v_lshrrev_b32_e32 v20, v6, v17
	v_cmp_ne_u32_e64 s0, 0, v2
	v_lshl_or_b32 v19, v0, 16, v19
	v_and_or_b32 v4, 0x1ff, v5, v4
	v_bfe_u32 v21, v5, 20, 11
	v_lshlrev_b32_e32 v0, v6, v20
	v_cndmask_b32_e64 v2, 0, 1, s0
	v_cmp_gt_i32_e64 s0, 31, v23
	v_lshl_or_b32 v2, v2, 9, 0x7c00
	v_cndmask_b32_e64 v6, 0x7c00, v7, s0
	v_cmp_ne_u32_e64 s0, v0, v17
	v_add_nc_u32_e32 v17, 0xfffffc10, v24
	v_cndmask_b32_e64 v0, 0, 1, s0
	v_cmp_eq_u32_e64 s0, 0x40f, v23
	v_lshl_or_b32 v7, v17, 12, v15
	v_cndmask_b32_e64 v6, v6, v2, s0
	v_cmp_ne_u32_e64 s0, 0, v4
	v_or_b32_e32 v2, v20, v0
	v_cvt_f32_f16_e32 v0, v1
	v_lshrrev_b32_e32 v20, 8, v5
	v_and_or_b32 v22, 0x8000, v22, v6
	v_cndmask_b32_e64 v4, 0, 1, s0
	v_cmp_gt_i32_e64 s0, 1, v17
	v_cvt_f64_f32_e32 v[0:1], v0
	v_lshrrev_b32_e32 v5, 16, v5
	v_and_or_b32 v4, 0xffe, v20, v4
	v_cndmask_b32_e64 v7, v7, v2, s0
	v_sub_nc_u32_e32 v2, 0x3f1, v21
	v_lshrrev_b32_e32 v20, 16, v16
	v_add_nc_u32_e32 v21, 0xfffffc10, v21
	v_or_b32_e32 v24, 0x1000, v4
	v_and_b32_e32 v23, 7, v7
	v_med3_i32 v25, v2, 0, 13
	v_mul_f16_sdwa v26, v50, v20 dst_sel:DWORD dst_unused:UNUSED_PAD src0_sel:WORD_1 src1_sel:DWORD
	v_add_co_u32 v2, s0, v13, s8
	v_add_co_ci_u32_e64 v3, s0, s9, v14, s0
	v_lshrrev_b32_e32 v27, v25, v24
	v_fmac_f16_e32 v26, v50, v16
	v_cmp_lt_i32_e64 s0, 5, v23
	v_cmp_eq_u32_e64 s1, 3, v23
	v_lshrrev_b32_e32 v6, 2, v7
	v_lshlrev_b32_e32 v23, v25, v27
	v_cvt_f32_f16_e32 v7, v26
	v_mul_f64 v[0:1], v[0:1], s[12:13]
	s_or_b32 s0, s1, s0
	v_mul_f16_sdwa v16, v50, v16 dst_sel:DWORD dst_unused:UNUSED_PAD src0_sel:WORD_1 src1_sel:DWORD
	v_add_co_ci_u32_e64 v25, s0, 0, v6, s0
	v_cmp_ne_u32_e64 s0, v23, v24
	v_cvt_f64_f32_e32 v[6:7], v7
	v_lshl_or_b32 v24, v21, 12, v4
	v_fma_f16 v16, v50, v20, -v16
	v_cndmask_b32_e64 v23, 0, 1, s0
	v_cmp_ne_u32_e64 s0, 0, v15
	v_cvt_f32_f16_e32 v16, v16
	v_or_b32_e32 v23, v27, v23
	v_cndmask_b32_e64 v15, 0, 1, s0
	v_cmp_gt_i32_e64 s0, 31, v17
	v_lshl_or_b32 v15, v15, 9, 0x7c00
	v_cndmask_b32_e64 v20, 0x7c00, v25, s0
	v_cmp_gt_i32_e64 s0, 1, v21
	v_and_or_b32 v0, 0x1ff, v1, v0
	v_bfe_u32 v25, v1, 20, 11
	v_cndmask_b32_e64 v23, v24, v23, s0
	v_cmp_eq_u32_e64 s0, 0x40f, v17
	v_mul_f64 v[6:7], v[6:7], s[12:13]
	v_lshrrev_b32_e32 v24, 8, v1
	v_lshrrev_b32_e32 v1, 16, v1
	v_cndmask_b32_e64 v17, v20, v15, s0
	v_cvt_f64_f32_e32 v[15:16], v16
	v_cmp_ne_u32_e64 s0, 0, v0
	v_and_b32_e32 v20, 7, v23
	v_and_or_b32 v17, 0x8000, v18, v17
	v_and_b32_e32 v18, 0xffff, v22
	v_cndmask_b32_e64 v0, 0, 1, s0
	v_cmp_lt_i32_e64 s0, 5, v20
	v_cmp_eq_u32_e64 s1, 3, v20
	v_sub_nc_u32_e32 v22, 0x3f1, v25
	v_lshl_or_b32 v17, v17, 16, v18
	v_lshrrev_b32_e32 v18, 2, v23
	v_and_or_b32 v0, 0xffe, v24, v0
	s_or_b32 s0, s1, s0
	v_med3_i32 v22, v22, 0, 13
	v_add_co_ci_u32_e64 v18, s0, 0, v18, s0
	v_or_b32_e32 v20, 0x1000, v0
	v_cmp_ne_u32_e64 s0, 0, v4
	v_and_or_b32 v6, 0x1ff, v7, v6
	v_lshrrev_b32_e32 v24, 8, v7
	v_mul_f64 v[15:16], v[15:16], s[12:13]
	v_lshrrev_b32_e32 v23, v22, v20
	v_cndmask_b32_e64 v4, 0, 1, s0
	v_cmp_gt_i32_e64 s0, 31, v21
	v_bfe_u32 v26, v7, 20, 11
	v_lshrrev_b32_e32 v7, 16, v7
	v_lshlrev_b32_e32 v22, v22, v23
	v_lshl_or_b32 v4, v4, 9, 0x7c00
	v_cndmask_b32_e64 v18, 0x7c00, v18, s0
	v_cmp_ne_u32_e64 s0, 0, v6
	v_cndmask_b32_e64 v6, 0, 1, s0
	v_cmp_ne_u32_e64 s0, v22, v20
	v_add_nc_u32_e32 v22, 0xfffffc10, v25
	v_and_or_b32 v6, 0xffe, v24, v6
	v_cndmask_b32_e64 v20, 0, 1, s0
	v_sub_nc_u32_e32 v24, 0x3f1, v26
	v_cmp_eq_u32_e64 s0, 0x40f, v21
	v_and_or_b32 v15, 0x1ff, v16, v15
	v_or_b32_e32 v21, 0x1000, v6
	v_bfe_u32 v25, v16, 20, 11
	v_cndmask_b32_e64 v4, v18, v4, s0
	v_or_b32_e32 v18, v23, v20
	v_lshl_or_b32 v20, v22, 12, v0
	v_med3_i32 v23, v24, 0, 13
	v_cmp_gt_i32_e64 s0, 1, v22
	v_lshrrev_b32_e32 v24, 8, v16
	v_and_or_b32 v4, 0x8000, v5, v4
	v_cndmask_b32_e64 v18, v20, v18, s0
	v_lshrrev_b32_e32 v20, v23, v21
	v_cmp_ne_u32_e64 s0, 0, v15
	v_and_b32_e32 v27, 7, v18
	v_lshlrev_b32_e32 v23, v23, v20
	v_cndmask_b32_e64 v15, 0, 1, s0
	v_lshrrev_b32_e32 v18, 2, v18
	v_cmp_lt_i32_e64 s0, 5, v27
	v_cmp_ne_u32_e64 s1, v23, v21
	v_and_or_b32 v5, 0xffe, v24, v15
	v_sub_nc_u32_e32 v15, 0x3f1, v25
	v_add_nc_u32_e32 v24, 0xfffffc10, v26
	v_cndmask_b32_e64 v21, 0, 1, s1
	v_cmp_eq_u32_e64 s1, 3, v27
	v_or_b32_e32 v23, 0x1000, v5
	v_med3_i32 v15, v15, 0, 13
	v_lshl_or_b32 v26, v24, 12, v6
	v_or_b32_e32 v20, v20, v21
	s_or_b32 s0, s1, s0
	v_add_co_ci_u32_e64 v18, s0, 0, v18, s0
	v_lshrrev_b32_e32 v21, v15, v23
	v_cmp_gt_i32_e64 s0, 1, v24
	v_lshlrev_b32_e32 v15, v15, v21
	v_cndmask_b32_e64 v20, v26, v20, s0
	v_cmp_ne_u32_e64 s0, 0, v0
	v_cndmask_b32_e64 v0, 0, 1, s0
	v_cmp_ne_u32_e64 s0, v15, v23
	v_add_nc_u32_e32 v23, 0xfffffc10, v25
	v_and_b32_e32 v25, 7, v20
	v_lshl_or_b32 v0, v0, 9, 0x7c00
	v_cndmask_b32_e64 v15, 0, 1, s0
	v_cmp_gt_i32_e64 s0, 31, v22
	v_cmp_gt_i32_e64 s2, 1, v23
	v_cmp_eq_u32_e64 s1, 3, v25
	v_or_b32_e32 v15, v21, v15
	v_lshl_or_b32 v21, v23, 12, v5
	v_cndmask_b32_e64 v18, 0x7c00, v18, s0
	v_cmp_lt_i32_e64 s0, 5, v25
	v_cndmask_b32_e64 v15, v21, v15, s2
	v_cmp_eq_u32_e64 s2, 0x40f, v22
	s_or_b32 s0, s1, s0
	v_cndmask_b32_e64 v0, v18, v0, s2
	v_lshrrev_b32_e32 v18, 2, v20
	v_and_b32_e32 v20, 7, v15
	v_lshrrev_b32_e32 v15, 2, v15
	v_cmp_gt_i32_e64 s2, 31, v24
	v_and_or_b32 v0, 0x8000, v1, v0
	v_add_co_ci_u32_e64 v18, s0, 0, v18, s0
	v_cmp_ne_u32_e64 s0, 0, v6
	v_cmp_eq_u32_e64 s1, 3, v20
	v_and_b32_e32 v1, 0xffff, v4
	v_cndmask_b32_e64 v18, 0x7c00, v18, s2
	v_cndmask_b32_e64 v6, 0, 1, s0
	v_cmp_lt_i32_e64 s0, 5, v20
	v_lshl_or_b32 v6, v6, 9, 0x7c00
	s_or_b32 s0, s1, s0
	v_add_co_ci_u32_e64 v15, s0, 0, v15, s0
	v_cmp_ne_u32_e64 s0, 0, v5
	v_cndmask_b32_e64 v5, 0, 1, s0
	v_cmp_eq_u32_e64 s0, 0x40f, v24
	v_lshl_or_b32 v5, v5, 9, 0x7c00
	v_cndmask_b32_e64 v6, v18, v6, s0
	v_cmp_gt_i32_e64 s0, 31, v23
	v_and_or_b32 v6, 0x8000, v7, v6
	v_cndmask_b32_e64 v15, 0x7c00, v15, s0
	v_cmp_eq_u32_e64 s0, 0x40f, v23
	v_cndmask_b32_e64 v7, v15, v5, s0
	v_lshrrev_b32_e32 v15, 16, v16
	v_add_co_u32 v4, s0, v2, s10
	v_add_co_ci_u32_e64 v5, s0, s11, v3, s0
	v_lshl_or_b32 v16, v0, 16, v1
	v_and_or_b32 v0, 0x8000, v15, v7
	v_and_b32_e32 v1, 0xffff, v6
	v_add_co_u32 v6, s0, v4, s8
	v_add_co_ci_u32_e64 v7, s0, s9, v5, s0
	v_lshl_or_b32 v15, v0, 16, v1
	v_add_co_u32 v0, s0, v6, s10
	v_add_co_ci_u32_e64 v1, s0, s11, v7, s0
	global_store_dword v[13:14], v10, off
	global_store_dword v[2:3], v19, off
	;; [unrolled: 1-line block ×5, first 2 shown]
	s_and_b32 exec_lo, exec_lo, vcc_lo
	s_cbranch_execz .LBB0_23
; %bb.22:
	s_clause 0x1
	global_load_dword v2, v[8:9], off offset:2016
	global_load_dword v4, v[11:12], off offset:188
	ds_read_b32 v3, v49 offset:2016
	ds_read_b32 v5, v49 offset:4284
	s_waitcnt lgkmcnt(1)
	v_lshrrev_b32_e32 v6, 16, v3
	s_waitcnt lgkmcnt(0)
	v_lshrrev_b32_e32 v8, 16, v5
	s_waitcnt vmcnt(1)
	v_mul_f16_sdwa v7, v6, v2 dst_sel:DWORD dst_unused:UNUSED_PAD src0_sel:DWORD src1_sel:WORD_1
	v_mul_f16_sdwa v9, v3, v2 dst_sel:DWORD dst_unused:UNUSED_PAD src0_sel:DWORD src1_sel:WORD_1
	s_waitcnt vmcnt(0)
	v_mul_f16_sdwa v10, v8, v4 dst_sel:DWORD dst_unused:UNUSED_PAD src0_sel:DWORD src1_sel:WORD_1
	v_fmac_f16_e32 v7, v3, v2
	v_fma_f16 v2, v2, v6, -v9
	v_mul_f16_sdwa v6, v5, v4 dst_sel:DWORD dst_unused:UNUSED_PAD src0_sel:DWORD src1_sel:WORD_1
	v_fmac_f16_e32 v10, v5, v4
	v_cvt_f32_f16_e32 v3, v7
	v_cvt_f32_f16_e32 v5, v2
	v_fma_f16 v6, v4, v8, -v6
	v_cvt_f32_f16_e32 v7, v10
	v_cvt_f64_f32_e32 v[2:3], v3
	v_cvt_f64_f32_e32 v[4:5], v5
	v_cvt_f32_f16_e32 v8, v6
	v_cvt_f64_f32_e32 v[6:7], v7
	v_cvt_f64_f32_e32 v[8:9], v8
	v_mul_f64 v[2:3], v[2:3], s[12:13]
	v_mul_f64 v[4:5], v[4:5], s[12:13]
	;; [unrolled: 1-line block ×4, first 2 shown]
	v_and_or_b32 v2, 0x1ff, v3, v2
	v_and_or_b32 v4, 0x1ff, v5, v4
	v_lshrrev_b32_e32 v10, 8, v3
	v_and_or_b32 v6, 0x1ff, v7, v6
	v_bfe_u32 v11, v3, 20, 11
	v_cmp_ne_u32_e32 vcc_lo, 0, v2
	v_lshrrev_b32_e32 v12, 8, v5
	v_and_or_b32 v8, 0x1ff, v9, v8
	v_bfe_u32 v13, v5, 20, 11
	v_lshrrev_b32_e32 v14, 8, v7
	v_cndmask_b32_e64 v2, 0, 1, vcc_lo
	v_cmp_ne_u32_e32 vcc_lo, 0, v4
	v_bfe_u32 v15, v7, 20, 11
	v_bfe_u32 v17, v9, 20, 11
	v_sub_nc_u32_e32 v18, 0x3f1, v11
	v_and_or_b32 v2, 0xffe, v10, v2
	v_cndmask_b32_e64 v4, 0, 1, vcc_lo
	v_cmp_ne_u32_e32 vcc_lo, 0, v6
	v_add_nc_u32_e32 v11, 0xfffffc10, v11
	v_sub_nc_u32_e32 v19, 0x3f1, v13
	v_lshrrev_b32_e32 v16, 8, v9
	v_and_or_b32 v4, 0xffe, v12, v4
	v_cndmask_b32_e64 v6, 0, 1, vcc_lo
	v_cmp_ne_u32_e32 vcc_lo, 0, v8
	v_add_nc_u32_e32 v13, 0xfffffc10, v13
	v_sub_nc_u32_e32 v20, 0x3f1, v15
	v_sub_nc_u32_e32 v21, 0x3f1, v17
	v_med3_i32 v10, v18, 0, 13
	v_cndmask_b32_e64 v8, 0, 1, vcc_lo
	v_cmp_ne_u32_e32 vcc_lo, 0, v2
	v_med3_i32 v12, v19, 0, 13
	v_and_or_b32 v6, 0xffe, v14, v6
	v_or_b32_e32 v18, 0x1000, v2
	v_lshl_or_b32 v19, v11, 12, v2
	v_cndmask_b32_e64 v2, 0, 1, vcc_lo
	v_cmp_ne_u32_e32 vcc_lo, 0, v4
	v_add_nc_u32_e32 v15, 0xfffffc10, v15
	v_med3_i32 v14, v20, 0, 13
	v_and_or_b32 v8, 0xffe, v16, v8
	v_med3_i32 v16, v21, 0, 13
	v_or_b32_e32 v20, 0x1000, v4
	v_lshl_or_b32 v21, v13, 12, v4
	v_cndmask_b32_e64 v4, 0, 1, vcc_lo
	v_cmp_ne_u32_e32 vcc_lo, 0, v6
	v_lshrrev_b32_e32 v26, v10, v18
	v_add_nc_u32_e32 v17, 0xfffffc10, v17
	v_or_b32_e32 v22, 0x1000, v6
	v_lshl_or_b32 v23, v15, 12, v6
	v_cndmask_b32_e64 v6, 0, 1, vcc_lo
	v_cmp_ne_u32_e32 vcc_lo, 0, v8
	v_lshrrev_b32_e32 v27, v12, v20
	v_lshlrev_b32_e32 v10, v10, v26
	v_or_b32_e32 v24, 0x1000, v8
	v_lshl_or_b32 v25, v17, 12, v8
	v_cndmask_b32_e64 v8, 0, 1, vcc_lo
	v_lshrrev_b32_e32 v28, v14, v22
	v_lshlrev_b32_e32 v12, v12, v27
	v_cmp_ne_u32_e32 vcc_lo, v10, v18
	v_lshrrev_b32_e32 v29, v16, v24
	v_lshl_or_b32 v2, v2, 9, 0x7c00
	v_lshlrev_b32_e32 v14, v14, v28
	v_lshl_or_b32 v6, v6, 9, 0x7c00
	v_cndmask_b32_e64 v10, 0, 1, vcc_lo
	v_cmp_ne_u32_e32 vcc_lo, v12, v20
	v_lshlrev_b32_e32 v16, v16, v29
	v_lshl_or_b32 v4, v4, 9, 0x7c00
	v_lshrrev_b32_e32 v3, 16, v3
	v_or_b32_e32 v10, v26, v10
	v_cndmask_b32_e64 v12, 0, 1, vcc_lo
	v_cmp_ne_u32_e32 vcc_lo, v14, v22
	v_lshrrev_b32_e32 v7, 16, v7
	v_lshl_or_b32 v8, v8, 9, 0x7c00
	v_lshrrev_b32_e32 v5, 16, v5
	v_or_b32_e32 v12, v27, v12
	v_cndmask_b32_e64 v14, 0, 1, vcc_lo
	v_cmp_ne_u32_e32 vcc_lo, v16, v24
	v_lshrrev_b32_e32 v9, 16, v9
	v_or_b32_e32 v14, v28, v14
	v_cndmask_b32_e64 v16, 0, 1, vcc_lo
	v_cmp_gt_i32_e32 vcc_lo, 1, v11
	v_or_b32_e32 v16, v29, v16
	v_cndmask_b32_e32 v10, v19, v10, vcc_lo
	v_cmp_gt_i32_e32 vcc_lo, 1, v13
	v_and_b32_e32 v18, 7, v10
	v_cndmask_b32_e32 v12, v21, v12, vcc_lo
	v_cmp_gt_i32_e32 vcc_lo, 1, v15
	v_lshrrev_b32_e32 v10, 2, v10
	v_cmp_eq_u32_e64 s0, 3, v18
	v_and_b32_e32 v19, 7, v12
	v_cndmask_b32_e32 v14, v23, v14, vcc_lo
	v_cmp_gt_i32_e32 vcc_lo, 1, v17
	v_lshrrev_b32_e32 v12, 2, v12
	v_cmp_lt_i32_e64 s1, 5, v19
	v_and_b32_e32 v20, 7, v14
	v_cndmask_b32_e32 v16, v25, v16, vcc_lo
	v_cmp_lt_i32_e32 vcc_lo, 5, v18
	v_cmp_eq_u32_e64 s2, 3, v19
	v_lshrrev_b32_e32 v14, 2, v14
	v_cmp_lt_i32_e64 s3, 5, v20
	v_and_b32_e32 v21, 7, v16
	s_or_b32 vcc_lo, s0, vcc_lo
	v_cmp_eq_u32_e64 s4, 3, v20
	v_add_co_ci_u32_e32 v10, vcc_lo, 0, v10, vcc_lo
	s_or_b32 vcc_lo, s2, s1
	v_cmp_lt_i32_e64 s5, 5, v21
	v_cmp_eq_u32_e64 s6, 3, v21
	v_add_co_ci_u32_e32 v12, vcc_lo, 0, v12, vcc_lo
	v_lshrrev_b32_e32 v16, 2, v16
	s_or_b32 vcc_lo, s4, s3
	v_add_co_ci_u32_e32 v14, vcc_lo, 0, v14, vcc_lo
	s_or_b32 vcc_lo, s6, s5
	v_add_co_ci_u32_e32 v16, vcc_lo, 0, v16, vcc_lo
	v_cmp_gt_i32_e32 vcc_lo, 31, v11
	v_cndmask_b32_e32 v10, 0x7c00, v10, vcc_lo
	v_cmp_gt_i32_e32 vcc_lo, 31, v13
	v_cndmask_b32_e32 v12, 0x7c00, v12, vcc_lo
	;; [unrolled: 2-line block ×4, first 2 shown]
	v_cmp_eq_u32_e32 vcc_lo, 0x40f, v11
	v_cndmask_b32_e32 v2, v10, v2, vcc_lo
	v_cmp_eq_u32_e32 vcc_lo, 0x40f, v15
	v_and_or_b32 v2, 0x8000, v3, v2
	v_cndmask_b32_e32 v6, v14, v6, vcc_lo
	v_cmp_eq_u32_e32 vcc_lo, 0x40f, v13
	v_and_or_b32 v3, 0x8000, v7, v6
	v_cndmask_b32_e32 v4, v12, v4, vcc_lo
	v_cmp_eq_u32_e32 vcc_lo, 0x40f, v17
	v_and_b32_e32 v6, 0xffff, v2
	v_and_b32_e32 v7, 0xffff, v3
	v_and_or_b32 v4, 0x8000, v5, v4
	v_cndmask_b32_e32 v8, v16, v8, vcc_lo
	v_add_co_u32 v0, vcc_lo, v0, s8
	v_add_co_ci_u32_e32 v1, vcc_lo, s9, v1, vcc_lo
	v_and_or_b32 v5, 0x8000, v9, v8
	v_add_co_u32 v2, vcc_lo, v0, s10
	v_lshl_or_b32 v4, v4, 16, v6
	v_add_co_ci_u32_e32 v3, vcc_lo, s11, v1, vcc_lo
	v_lshl_or_b32 v5, v5, 16, v7
	global_store_dword v[0:1], v4, off
	global_store_dword v[2:3], v5, off
.LBB0_23:
	s_endpgm
	.section	.rodata,"a",@progbits
	.p2align	6, 0x0
	.amdhsa_kernel bluestein_single_back_len1134_dim1_half_op_CI_CI
		.amdhsa_group_segment_fixed_size 4536
		.amdhsa_private_segment_fixed_size 0
		.amdhsa_kernarg_size 104
		.amdhsa_user_sgpr_count 6
		.amdhsa_user_sgpr_private_segment_buffer 1
		.amdhsa_user_sgpr_dispatch_ptr 0
		.amdhsa_user_sgpr_queue_ptr 0
		.amdhsa_user_sgpr_kernarg_segment_ptr 1
		.amdhsa_user_sgpr_dispatch_id 0
		.amdhsa_user_sgpr_flat_scratch_init 0
		.amdhsa_user_sgpr_private_segment_size 0
		.amdhsa_wavefront_size32 1
		.amdhsa_uses_dynamic_stack 0
		.amdhsa_system_sgpr_private_segment_wavefront_offset 0
		.amdhsa_system_sgpr_workgroup_id_x 1
		.amdhsa_system_sgpr_workgroup_id_y 0
		.amdhsa_system_sgpr_workgroup_id_z 0
		.amdhsa_system_sgpr_workgroup_info 0
		.amdhsa_system_vgpr_workitem_id 0
		.amdhsa_next_free_vgpr 111
		.amdhsa_next_free_sgpr 16
		.amdhsa_reserve_vcc 1
		.amdhsa_reserve_flat_scratch 0
		.amdhsa_float_round_mode_32 0
		.amdhsa_float_round_mode_16_64 0
		.amdhsa_float_denorm_mode_32 3
		.amdhsa_float_denorm_mode_16_64 3
		.amdhsa_dx10_clamp 1
		.amdhsa_ieee_mode 1
		.amdhsa_fp16_overflow 0
		.amdhsa_workgroup_processor_mode 1
		.amdhsa_memory_ordered 1
		.amdhsa_forward_progress 0
		.amdhsa_shared_vgpr_count 0
		.amdhsa_exception_fp_ieee_invalid_op 0
		.amdhsa_exception_fp_denorm_src 0
		.amdhsa_exception_fp_ieee_div_zero 0
		.amdhsa_exception_fp_ieee_overflow 0
		.amdhsa_exception_fp_ieee_underflow 0
		.amdhsa_exception_fp_ieee_inexact 0
		.amdhsa_exception_int_div_zero 0
	.end_amdhsa_kernel
	.text
.Lfunc_end0:
	.size	bluestein_single_back_len1134_dim1_half_op_CI_CI, .Lfunc_end0-bluestein_single_back_len1134_dim1_half_op_CI_CI
                                        ; -- End function
	.section	.AMDGPU.csdata,"",@progbits
; Kernel info:
; codeLenInByte = 18224
; NumSgprs: 18
; NumVgprs: 111
; ScratchSize: 0
; MemoryBound: 0
; FloatMode: 240
; IeeeMode: 1
; LDSByteSize: 4536 bytes/workgroup (compile time only)
; SGPRBlocks: 2
; VGPRBlocks: 13
; NumSGPRsForWavesPerEU: 18
; NumVGPRsForWavesPerEU: 111
; Occupancy: 9
; WaveLimiterHint : 1
; COMPUTE_PGM_RSRC2:SCRATCH_EN: 0
; COMPUTE_PGM_RSRC2:USER_SGPR: 6
; COMPUTE_PGM_RSRC2:TRAP_HANDLER: 0
; COMPUTE_PGM_RSRC2:TGID_X_EN: 1
; COMPUTE_PGM_RSRC2:TGID_Y_EN: 0
; COMPUTE_PGM_RSRC2:TGID_Z_EN: 0
; COMPUTE_PGM_RSRC2:TIDIG_COMP_CNT: 0
	.text
	.p2alignl 6, 3214868480
	.fill 48, 4, 3214868480
	.type	__hip_cuid_f4d2525feaab7de,@object ; @__hip_cuid_f4d2525feaab7de
	.section	.bss,"aw",@nobits
	.globl	__hip_cuid_f4d2525feaab7de
__hip_cuid_f4d2525feaab7de:
	.byte	0                               ; 0x0
	.size	__hip_cuid_f4d2525feaab7de, 1

	.ident	"AMD clang version 19.0.0git (https://github.com/RadeonOpenCompute/llvm-project roc-6.4.0 25133 c7fe45cf4b819c5991fe208aaa96edf142730f1d)"
	.section	".note.GNU-stack","",@progbits
	.addrsig
	.addrsig_sym __hip_cuid_f4d2525feaab7de
	.amdgpu_metadata
---
amdhsa.kernels:
  - .args:
      - .actual_access:  read_only
        .address_space:  global
        .offset:         0
        .size:           8
        .value_kind:     global_buffer
      - .actual_access:  read_only
        .address_space:  global
        .offset:         8
        .size:           8
        .value_kind:     global_buffer
      - .actual_access:  read_only
        .address_space:  global
        .offset:         16
        .size:           8
        .value_kind:     global_buffer
      - .actual_access:  read_only
        .address_space:  global
        .offset:         24
        .size:           8
        .value_kind:     global_buffer
      - .actual_access:  read_only
        .address_space:  global
        .offset:         32
        .size:           8
        .value_kind:     global_buffer
      - .offset:         40
        .size:           8
        .value_kind:     by_value
      - .address_space:  global
        .offset:         48
        .size:           8
        .value_kind:     global_buffer
      - .address_space:  global
        .offset:         56
        .size:           8
        .value_kind:     global_buffer
      - .address_space:  global
        .offset:         64
        .size:           8
        .value_kind:     global_buffer
      - .address_space:  global
        .offset:         72
        .size:           8
        .value_kind:     global_buffer
      - .offset:         80
        .size:           4
        .value_kind:     by_value
      - .address_space:  global
        .offset:         88
        .size:           8
        .value_kind:     global_buffer
      - .address_space:  global
        .offset:         96
        .size:           8
        .value_kind:     global_buffer
    .group_segment_fixed_size: 4536
    .kernarg_segment_align: 8
    .kernarg_segment_size: 104
    .language:       OpenCL C
    .language_version:
      - 2
      - 0
    .max_flat_workgroup_size: 126
    .name:           bluestein_single_back_len1134_dim1_half_op_CI_CI
    .private_segment_fixed_size: 0
    .sgpr_count:     18
    .sgpr_spill_count: 0
    .symbol:         bluestein_single_back_len1134_dim1_half_op_CI_CI.kd
    .uniform_work_group_size: 1
    .uses_dynamic_stack: false
    .vgpr_count:     111
    .vgpr_spill_count: 0
    .wavefront_size: 32
    .workgroup_processor_mode: 1
amdhsa.target:   amdgcn-amd-amdhsa--gfx1030
amdhsa.version:
  - 1
  - 2
...

	.end_amdgpu_metadata
